;; amdgpu-corpus repo=ROCm/rocFFT kind=compiled arch=gfx950 opt=O3
	.text
	.amdgcn_target "amdgcn-amd-amdhsa--gfx950"
	.amdhsa_code_object_version 6
	.protected	fft_rtc_fwd_len357_factors_17_3_7_wgs_187_tpt_17_halfLds_half_ip_CI_unitstride_sbrr_dirReg ; -- Begin function fft_rtc_fwd_len357_factors_17_3_7_wgs_187_tpt_17_halfLds_half_ip_CI_unitstride_sbrr_dirReg
	.globl	fft_rtc_fwd_len357_factors_17_3_7_wgs_187_tpt_17_halfLds_half_ip_CI_unitstride_sbrr_dirReg
	.p2align	8
	.type	fft_rtc_fwd_len357_factors_17_3_7_wgs_187_tpt_17_halfLds_half_ip_CI_unitstride_sbrr_dirReg,@function
fft_rtc_fwd_len357_factors_17_3_7_wgs_187_tpt_17_halfLds_half_ip_CI_unitstride_sbrr_dirReg: ; @fft_rtc_fwd_len357_factors_17_3_7_wgs_187_tpt_17_halfLds_half_ip_CI_unitstride_sbrr_dirReg
; %bb.0:
	s_load_dwordx2 s[8:9], s[0:1], 0x50
	s_load_dwordx4 s[4:7], s[0:1], 0x0
	s_load_dwordx2 s[10:11], s[0:1], 0x18
	v_mul_u32_u24_e32 v1, 0xf10, v0
	v_lshrrev_b32_e32 v2, 16, v1
	v_mad_u64_u32 v[2:3], s[2:3], s2, 11, v[2:3]
	v_mov_b32_e32 v6, 0
	v_mov_b32_e32 v3, v6
	s_waitcnt lgkmcnt(0)
	v_cmp_lt_u64_e64 s[2:3], s[6:7], 2
	s_and_b64 vcc, exec, s[2:3]
	v_mov_b64_e32 v[4:5], 0
	v_mov_b64_e32 v[10:11], v[2:3]
	s_cbranch_vccnz .LBB0_8
; %bb.1:
	s_load_dwordx2 s[2:3], s[0:1], 0x10
	s_add_u32 s12, s10, 8
	s_addc_u32 s13, s11, 0
	s_mov_b64 s[14:15], 1
	v_mov_b64_e32 v[4:5], 0
	s_waitcnt lgkmcnt(0)
	s_add_u32 s16, s2, 8
	s_addc_u32 s17, s3, 0
	v_mov_b64_e32 v[8:9], v[2:3]
.LBB0_2:                                ; =>This Inner Loop Header: Depth=1
	s_load_dwordx2 s[18:19], s[16:17], 0x0
                                        ; implicit-def: $vgpr10_vgpr11
	s_waitcnt lgkmcnt(0)
	v_or_b32_e32 v7, s19, v9
	v_cmp_ne_u64_e32 vcc, 0, v[6:7]
	s_and_saveexec_b64 s[2:3], vcc
	s_xor_b64 s[20:21], exec, s[2:3]
	s_cbranch_execz .LBB0_4
; %bb.3:                                ;   in Loop: Header=BB0_2 Depth=1
	v_cvt_f32_u32_e32 v1, s18
	v_cvt_f32_u32_e32 v3, s19
	s_sub_u32 s2, 0, s18
	s_subb_u32 s3, 0, s19
	v_fmac_f32_e32 v1, 0x4f800000, v3
	v_rcp_f32_e32 v1, v1
	s_nop 0
	v_mul_f32_e32 v1, 0x5f7ffffc, v1
	v_mul_f32_e32 v3, 0x2f800000, v1
	v_trunc_f32_e32 v3, v3
	v_fmac_f32_e32 v1, 0xcf800000, v3
	v_cvt_u32_f32_e32 v3, v3
	v_cvt_u32_f32_e32 v1, v1
	v_mul_lo_u32 v7, s2, v3
	v_mul_hi_u32 v10, s2, v1
	v_mul_lo_u32 v11, s3, v1
	v_add_u32_e32 v7, v10, v7
	v_mul_lo_u32 v14, s2, v1
	v_add_u32_e32 v7, v7, v11
	v_mul_hi_u32 v10, v1, v14
	v_mul_hi_u32 v13, v1, v7
	v_mul_lo_u32 v12, v1, v7
	v_mov_b32_e32 v11, v6
	v_lshl_add_u64 v[10:11], v[10:11], 0, v[12:13]
	v_mul_hi_u32 v13, v3, v14
	v_mul_lo_u32 v14, v3, v14
	v_add_co_u32_e32 v10, vcc, v10, v14
	v_mul_hi_u32 v12, v3, v7
	s_nop 0
	v_addc_co_u32_e32 v10, vcc, v11, v13, vcc
	v_mov_b32_e32 v11, v6
	s_nop 0
	v_addc_co_u32_e32 v13, vcc, 0, v12, vcc
	v_mul_lo_u32 v12, v3, v7
	v_lshl_add_u64 v[10:11], v[10:11], 0, v[12:13]
	v_add_co_u32_e32 v1, vcc, v1, v10
	v_mul_hi_u32 v10, s2, v1
	s_nop 0
	v_addc_co_u32_e32 v3, vcc, v3, v11, vcc
	v_mul_lo_u32 v7, s2, v3
	v_add_u32_e32 v7, v10, v7
	v_mul_lo_u32 v10, s3, v1
	v_add_u32_e32 v7, v7, v10
	v_mul_lo_u32 v12, s2, v1
	v_mul_hi_u32 v15, v3, v12
	v_mul_lo_u32 v16, v3, v12
	v_mul_hi_u32 v11, v1, v7
	;; [unrolled: 2-line block ×3, first 2 shown]
	v_mov_b32_e32 v13, v6
	v_lshl_add_u64 v[10:11], v[12:13], 0, v[10:11]
	v_add_co_u32_e32 v10, vcc, v10, v16
	v_mul_hi_u32 v14, v3, v7
	s_nop 0
	v_addc_co_u32_e32 v10, vcc, v11, v15, vcc
	v_mul_lo_u32 v12, v3, v7
	s_nop 0
	v_addc_co_u32_e32 v13, vcc, 0, v14, vcc
	v_mov_b32_e32 v11, v6
	v_lshl_add_u64 v[10:11], v[10:11], 0, v[12:13]
	v_add_co_u32_e32 v1, vcc, v1, v10
	v_mul_hi_u32 v12, v8, v1
	s_nop 0
	v_addc_co_u32_e32 v3, vcc, v3, v11, vcc
	v_mad_u64_u32 v[10:11], s[2:3], v8, v3, 0
	v_mov_b32_e32 v13, v6
	v_lshl_add_u64 v[10:11], v[12:13], 0, v[10:11]
	v_mad_u64_u32 v[14:15], s[2:3], v9, v1, 0
	v_add_co_u32_e32 v1, vcc, v10, v14
	v_mad_u64_u32 v[12:13], s[2:3], v9, v3, 0
	s_nop 0
	v_addc_co_u32_e32 v10, vcc, v11, v15, vcc
	v_mov_b32_e32 v11, v6
	s_nop 0
	v_addc_co_u32_e32 v13, vcc, 0, v13, vcc
	v_lshl_add_u64 v[10:11], v[10:11], 0, v[12:13]
	v_mul_lo_u32 v1, s19, v10
	v_mul_lo_u32 v3, s18, v11
	v_mad_u64_u32 v[12:13], s[2:3], s18, v10, 0
	v_add3_u32 v1, v13, v3, v1
	v_sub_u32_e32 v3, v9, v1
	v_mov_b32_e32 v7, s19
	v_sub_co_u32_e32 v16, vcc, v8, v12
	v_lshl_add_u64 v[14:15], v[10:11], 0, 1
	s_nop 0
	v_subb_co_u32_e64 v3, s[2:3], v3, v7, vcc
	v_subrev_co_u32_e64 v7, s[2:3], s18, v16
	v_subb_co_u32_e32 v1, vcc, v9, v1, vcc
	s_nop 0
	v_subbrev_co_u32_e64 v3, s[2:3], 0, v3, s[2:3]
	v_cmp_le_u32_e64 s[2:3], s19, v3
	v_cmp_le_u32_e32 vcc, s19, v1
	s_nop 0
	v_cndmask_b32_e64 v12, 0, -1, s[2:3]
	v_cmp_le_u32_e64 s[2:3], s18, v7
	s_nop 1
	v_cndmask_b32_e64 v7, 0, -1, s[2:3]
	v_cmp_eq_u32_e64 s[2:3], s19, v3
	s_nop 1
	v_cndmask_b32_e64 v3, v12, v7, s[2:3]
	v_lshl_add_u64 v[12:13], v[10:11], 0, 2
	v_cmp_ne_u32_e64 s[2:3], 0, v3
	v_cndmask_b32_e64 v7, 0, -1, vcc
	v_cmp_le_u32_e32 vcc, s18, v16
	v_cndmask_b32_e64 v3, v15, v13, s[2:3]
	s_nop 0
	v_cndmask_b32_e64 v13, 0, -1, vcc
	v_cmp_eq_u32_e32 vcc, s19, v1
	s_nop 1
	v_cndmask_b32_e32 v1, v7, v13, vcc
	v_cmp_ne_u32_e32 vcc, 0, v1
	v_cndmask_b32_e64 v1, v14, v12, s[2:3]
	s_nop 0
	v_cndmask_b32_e32 v11, v11, v3, vcc
	v_cndmask_b32_e32 v10, v10, v1, vcc
.LBB0_4:                                ;   in Loop: Header=BB0_2 Depth=1
	s_andn2_saveexec_b64 s[2:3], s[20:21]
	s_cbranch_execz .LBB0_6
; %bb.5:                                ;   in Loop: Header=BB0_2 Depth=1
	v_cvt_f32_u32_e32 v1, s18
	s_sub_i32 s20, 0, s18
	v_mov_b32_e32 v11, v6
	v_rcp_iflag_f32_e32 v1, v1
	s_nop 0
	v_mul_f32_e32 v1, 0x4f7ffffe, v1
	v_cvt_u32_f32_e32 v1, v1
	v_mul_lo_u32 v3, s20, v1
	v_mul_hi_u32 v3, v1, v3
	v_add_u32_e32 v1, v1, v3
	v_mul_hi_u32 v1, v8, v1
	v_mul_lo_u32 v3, v1, s18
	v_sub_u32_e32 v3, v8, v3
	v_add_u32_e32 v7, 1, v1
	v_subrev_u32_e32 v10, s18, v3
	v_cmp_le_u32_e32 vcc, s18, v3
	s_nop 1
	v_cndmask_b32_e32 v3, v3, v10, vcc
	v_cndmask_b32_e32 v1, v1, v7, vcc
	v_add_u32_e32 v7, 1, v1
	v_cmp_le_u32_e32 vcc, s18, v3
	s_nop 1
	v_cndmask_b32_e32 v10, v1, v7, vcc
.LBB0_6:                                ;   in Loop: Header=BB0_2 Depth=1
	s_or_b64 exec, exec, s[2:3]
	v_mad_u64_u32 v[12:13], s[2:3], v10, s18, 0
	s_load_dwordx2 s[2:3], s[12:13], 0x0
	s_add_u32 s14, s14, 1
	v_mul_lo_u32 v1, v11, s18
	v_mul_lo_u32 v3, v10, s19
	s_addc_u32 s15, s15, 0
	v_add3_u32 v1, v13, v3, v1
	v_sub_co_u32_e32 v3, vcc, v8, v12
	s_add_u32 s12, s12, 8
	s_nop 0
	v_subb_co_u32_e32 v1, vcc, v9, v1, vcc
	s_addc_u32 s13, s13, 0
	v_mov_b64_e32 v[8:9], s[6:7]
	s_waitcnt lgkmcnt(0)
	v_mul_lo_u32 v1, s2, v1
	v_mul_lo_u32 v7, s3, v3
	v_mad_u64_u32 v[4:5], s[2:3], s2, v3, v[4:5]
	s_add_u32 s16, s16, 8
	v_cmp_ge_u64_e32 vcc, s[14:15], v[8:9]
	v_add3_u32 v5, v7, v5, v1
	s_addc_u32 s17, s17, 0
	s_cbranch_vccnz .LBB0_8
; %bb.7:                                ;   in Loop: Header=BB0_2 Depth=1
	v_mov_b64_e32 v[8:9], v[10:11]
	s_branch .LBB0_2
.LBB0_8:
	s_lshl_b64 s[2:3], s[6:7], 3
	s_add_u32 s2, s10, s2
	s_addc_u32 s3, s11, s3
	s_load_dwordx2 s[6:7], s[2:3], 0x0
	s_load_dwordx2 s[10:11], s[0:1], 0x20
                                        ; implicit-def: $vgpr71
                                        ; implicit-def: $vgpr64
                                        ; implicit-def: $vgpr49
                                        ; implicit-def: $vgpr63
                                        ; implicit-def: $vgpr48
                                        ; implicit-def: $vgpr62
                                        ; implicit-def: $vgpr47
                                        ; implicit-def: $vgpr60
                                        ; implicit-def: $vgpr46
                                        ; implicit-def: $vgpr59
                                        ; implicit-def: $vgpr44
                                        ; implicit-def: $vgpr58
                                        ; implicit-def: $vgpr43
                                        ; implicit-def: $vgpr57
                                        ; implicit-def: $vgpr42
                                        ; implicit-def: $vgpr8
                                        ; implicit-def: $vgpr56
                                        ; implicit-def: $vgpr37
                                        ; implicit-def: $vgpr61
                                        ; implicit-def: $vgpr45
                                        ; implicit-def: $vgpr66
                                        ; implicit-def: $vgpr51
                                        ; implicit-def: $vgpr67
                                        ; implicit-def: $vgpr52
                                        ; implicit-def: $vgpr70
                                        ; implicit-def: $vgpr54
                                        ; implicit-def: $vgpr39
                                        ; implicit-def: $vgpr22
                                        ; implicit-def: $vgpr35
                                        ; implicit-def: $vgpr18
                                        ; implicit-def: $vgpr33
                                        ; implicit-def: $vgpr17
                                        ; implicit-def: $vgpr31
                                        ; implicit-def: $vgpr15
                                        ; implicit-def: $vgpr28
                                        ; implicit-def: $vgpr14
                                        ; implicit-def: $vgpr25
                                        ; implicit-def: $vgpr12
                                        ; implicit-def: $vgpr23
                                        ; implicit-def: $vgpr19
                                        ; implicit-def: $vgpr9
                                        ; implicit-def: $vgpr41
                                        ; implicit-def: $vgpr38
                                        ; implicit-def: $vgpr40
                                        ; implicit-def: $vgpr34
                                        ; implicit-def: $vgpr36
                                        ; implicit-def: $vgpr29
                                        ; implicit-def: $vgpr32
                                        ; implicit-def: $vgpr26
                                        ; implicit-def: $vgpr30
                                        ; implicit-def: $vgpr21
                                        ; implicit-def: $vgpr27
                                        ; implicit-def: $vgpr16
                                        ; implicit-def: $vgpr24
                                        ; implicit-def: $vgpr13
                                        ; implicit-def: $vgpr20
                                        ; implicit-def: $vgpr69
                                        ; implicit-def: $vgpr55
                                        ; implicit-def: $vgpr68
                                        ; implicit-def: $vgpr53
                                        ; implicit-def: $vgpr65
                                        ; implicit-def: $vgpr50
	s_waitcnt lgkmcnt(0)
	v_mad_u64_u32 v[6:7], s[0:1], s6, v10, v[4:5]
	v_mul_lo_u32 v1, s6, v11
	v_mul_lo_u32 v3, s7, v10
	s_mov_b32 s0, 0xf0f0f10
	v_add3_u32 v7, v3, v7, v1
	v_mul_hi_u32 v1, v0, s0
	v_mul_u32_u24_e32 v1, 17, v1
	v_cmp_gt_u64_e32 vcc, s[10:11], v[10:11]
	v_sub_u32_e32 v4, v0, v1
	v_mov_b32_e32 v3, 0
	v_lshl_add_u64 v[6:7], v[6:7], 2, s[8:9]
	v_mov_b32_e32 v5, 0
                                        ; implicit-def: $vgpr0
                                        ; implicit-def: $vgpr1
                                        ; implicit-def: $vgpr11
                                        ; implicit-def: $vgpr10
	s_and_saveexec_b64 s[2:3], vcc
	s_cbranch_execz .LBB0_12
; %bb.9:
	v_mov_b32_e32 v5, 0
	v_lshl_add_u64 v[0:1], v[4:5], 2, v[6:7]
	global_load_dword v71, v[0:1], off
	global_load_dword v49, v[0:1], off offset:84
	global_load_dword v48, v[0:1], off offset:168
	;; [unrolled: 1-line block ×16, first 2 shown]
	v_cmp_gt_u32_e64 s[0:1], 4, v4
	v_mov_b32_e32 v3, v5
                                        ; implicit-def: $vgpr10
                                        ; implicit-def: $vgpr20
                                        ; implicit-def: $vgpr13
                                        ; implicit-def: $vgpr24
                                        ; implicit-def: $vgpr16
                                        ; implicit-def: $vgpr27
                                        ; implicit-def: $vgpr21
                                        ; implicit-def: $vgpr30
                                        ; implicit-def: $vgpr26
                                        ; implicit-def: $vgpr32
                                        ; implicit-def: $vgpr29
                                        ; implicit-def: $vgpr36
                                        ; implicit-def: $vgpr34
                                        ; implicit-def: $vgpr40
                                        ; implicit-def: $vgpr38
                                        ; implicit-def: $vgpr41
                                        ; implicit-def: $vgpr9
                                        ; implicit-def: $vgpr19
                                        ; implicit-def: $vgpr11
                                        ; implicit-def: $vgpr23
                                        ; implicit-def: $vgpr12
                                        ; implicit-def: $vgpr25
                                        ; implicit-def: $vgpr14
                                        ; implicit-def: $vgpr28
                                        ; implicit-def: $vgpr15
                                        ; implicit-def: $vgpr31
                                        ; implicit-def: $vgpr17
                                        ; implicit-def: $vgpr33
                                        ; implicit-def: $vgpr18
                                        ; implicit-def: $vgpr35
                                        ; implicit-def: $vgpr22
                                        ; implicit-def: $vgpr39
	s_and_saveexec_b64 s[6:7], s[0:1]
	s_cbranch_execz .LBB0_11
; %bb.10:
	global_load_dword v5, v[0:1], off offset:68
	global_load_dword v22, v[0:1], off offset:152
	;; [unrolled: 1-line block ×17, first 2 shown]
	s_waitcnt vmcnt(16)
	v_lshrrev_b32_e32 v3, 16, v5
	s_waitcnt vmcnt(15)
	v_lshrrev_b32_e32 v39, 16, v22
	;; [unrolled: 2-line block ×17, first 2 shown]
.LBB0_11:
	s_or_b64 exec, exec, s[6:7]
	s_waitcnt vmcnt(16)
	v_lshrrev_b32_e32 v0, 16, v71
	s_waitcnt vmcnt(15)
	v_lshrrev_b32_e32 v64, 16, v49
	;; [unrolled: 2-line block ×17, first 2 shown]
.LBB0_12:
	s_or_b64 exec, exec, s[2:3]
	s_mov_b32 s0, 0xba2e8ba3
	v_mul_hi_u32 v72, v2, s0
	v_lshrrev_b32_e32 v72, 3, v72
	v_sub_f16_e32 v78, v64, v70
	v_mul_lo_u32 v72, v72, 11
	v_add_f16_e32 v73, v49, v54
	s_mov_b32 s8, 0xb461
	v_mul_f16_e32 v79, 0xbbb2, v78
	v_sub_f16_e32 v81, v63, v67
	v_sub_u32_e32 v2, v2, v72
	v_fma_f16 v72, v73, s8, -v79
	v_add_f16_e32 v80, v48, v52
	s_mov_b32 s9, 0xbacd
	v_mul_f16_e32 v82, 0x3836, v81
	v_sub_f16_e32 v84, v62, v66
	v_add_f16_e32 v72, v72, v71
	v_fma_f16 v74, v80, s9, -v82
	v_add_f16_e32 v83, v47, v51
	s_movk_i32 s11, 0x39e9
	v_mul_f16_e32 v85, 0x3964, v84
	v_sub_f16_e32 v87, v60, v69
	v_add_f16_e32 v72, v74, v72
	v_fma_f16 v74, v83, s11, -v85
	v_add_f16_e32 v86, v55, v46
	s_movk_i32 s12, 0x3722
	v_mul_f16_e32 v88, 0xbb29, v87
	v_sub_f16_e32 v90, v59, v68
	s_mov_b32 s15, 0xbbdd
	v_add_f16_e32 v72, v74, v72
	v_fma_f16 v74, v86, s12, -v88
	v_add_f16_e32 v89, v53, v44
	v_mul_f16_e32 v91, 0xb1e1, v90
	v_sub_f16_e32 v93, v58, v61
	v_add_f16_e32 v72, v72, v74
	v_fma_f16 v74, v89, s15, -v91
	v_add_f16_e32 v92, v43, v45
	s_movk_i32 s6, 0x2de8
	v_mul_f16_e32 v94, 0x3bf7, v93
	v_sub_f16_e32 v96, v57, v65
	s_movk_i32 s10, 0x3b76
	v_add_f16_e32 v72, v72, v74
	v_fma_f16 v74, v92, s6, -v94
	v_add_f16_e32 v95, v50, v42
	v_mul_f16_e32 v97, 0xb5c8, v96
	v_sub_f16_e32 v99, v1, v56
	s_mov_b32 s7, 0xb8d2
	v_add_f16_e32 v72, v74, v72
	v_fma_f16 v74, v95, s10, -v97
	v_add_f16_e32 v98, v8, v37
	v_mul_f16_e32 v100, 0xba62, v99
	s_mov_b32 s33, 0xb964b5c8
	v_add_f16_e32 v72, v72, v74
	v_fma_f16 v74, v98, s7, -v100
	s_mov_b32 s29, 0x39e93b76
	v_pk_mul_f16 v101, v78, s33 op_sel_hi:[0,1]
	s_mov_b32 s35, 0xbbf7b964
	v_add_f16_e32 v72, v74, v72
	v_pk_fma_f16 v74, v73, s29, v101 op_sel_hi:[0,1,1] neg_lo:[0,0,1] neg_hi:[0,0,1]
	s_mov_b32 s30, 0x2de839e9
	v_pk_mul_f16 v102, v81, s35 op_sel_hi:[0,1]
	s_mov_b32 s37, 0xba62bb29
	v_pk_add_f16 v74, v74, v71 op_sel_hi:[1,0]
	v_pk_fma_f16 v75, v80, s30, v102 op_sel_hi:[0,1,1] neg_lo:[0,0,1] neg_hi:[0,0,1]
	s_mov_b32 s34, 0xb8d23722
	v_pk_mul_f16 v103, v84, s37 op_sel_hi:[0,1]
	s_mov_b32 s39, 0xb1e1bbf7
	v_pk_add_f16 v74, v75, v74
	v_pk_fma_f16 v75, v83, s34, v103 op_sel_hi:[0,1,1] neg_lo:[0,0,1] neg_hi:[0,0,1]
	s_mov_b32 s36, 0xbbdd2de8
	v_pk_mul_f16 v104, v87, s39 op_sel_hi:[0,1]
	s_mov_b32 s41, 0x3836bbb2
	v_pk_add_f16 v74, v75, v74
	;; [unrolled: 5-line block ×7, first 2 shown]
	v_pk_fma_f16 v75, v73, s46, v109 op_sel_hi:[0,1,1] neg_lo:[0,0,1] neg_hi:[0,0,1]
	s_mov_b32 s48, 0xbbddb8d2
	v_pk_mul_f16 v110, v81, s51 op_sel_hi:[0,1]
	s_mov_b32 s53, 0x3bb231e1
	v_pk_add_f16 v75, v75, v71 op_sel_hi:[1,0]
	v_pk_fma_f16 v76, v80, s48, v110 op_sel_hi:[0,1,1] neg_lo:[0,0,1] neg_hi:[0,0,1]
	s_mov_b32 s50, 0xb461bbdd
	v_pk_mul_f16 v111, v84, s53 op_sel_hi:[0,1]
	s_mov_b32 s55, 0x35c83bb2
	v_pk_add_f16 v75, v76, v75
	v_pk_fma_f16 v76, v83, s50, v111 op_sel_hi:[0,1,1] neg_lo:[0,0,1] neg_hi:[0,0,1]
	s_mov_b32 s52, 0x3b76b461
	v_pk_mul_f16 v112, v87, s55 op_sel_hi:[0,1]
	s_mov_b32 s57, 0xbb293964
	v_pk_add_f16 v75, v76, v75
	;; [unrolled: 5-line block ×7, first 2 shown]
	v_pk_fma_f16 v76, v73, s13, v117 op_sel_hi:[0,1,1] neg_lo:[0,0,1] neg_hi:[0,0,1]
	s_mov_b32 s14, 0x3722b461
	v_pk_mul_f16 v118, v81, s21 op_sel_hi:[0,1]
	s_mov_b32 s22, 0xbbf7b5c8
	v_pk_add_f16 v76, v76, v71 op_sel_hi:[1,0]
	v_pk_fma_f16 v77, v80, s14, v118 op_sel_hi:[0,1,1] neg_lo:[0,0,1] neg_hi:[0,0,1]
	s_mov_b32 s16, 0x2de83b76
	v_pk_mul_f16 v119, v84, s22 op_sel_hi:[0,1]
	s_mov_b32 s24, 0x3a62b836
	v_pk_add_f16 v76, v77, v76
	v_pk_fma_f16 v77, v83, s16, v119 op_sel_hi:[0,1,1] neg_lo:[0,0,1] neg_hi:[0,0,1]
	s_mov_b32 s17, 0xb8d2bacd
	v_pk_mul_f16 v120, v87, s24 op_sel_hi:[0,1]
	s_mov_b32 s26, 0xb5c83bf7
	v_pk_add_f16 v76, v77, v76
	;; [unrolled: 5-line block ×5, first 2 shown]
	v_pk_fma_f16 v77, v95, s23, v123 op_sel_hi:[0,1,1] neg_lo:[0,0,1] neg_hi:[0,0,1]
	s_mov_b32 s25, 0xb4613722
	v_pk_mul_f16 v124, v99, s31 op_sel_hi:[0,1]
	v_pk_add_f16 v76, v76, v77
	v_pk_fma_f16 v77, v98, s25, v124 op_sel_hi:[0,1,1] neg_lo:[0,0,1] neg_hi:[0,0,1]
	v_pk_add_f16 v77, v77, v76
	v_alignbit_b32 v76, v72, v75, 16
	v_add_f16_e32 v72, v71, v49
	v_add_f16_e32 v72, v72, v48
	;; [unrolled: 1-line block ×16, first 2 shown]
	v_alignbit_b32 v75, v75, v74, 16
	v_pack_b32_f16 v74, v72, v74
	v_mul_u32_u24_e32 v72, 0x165, v2
	v_mad_u32_u24 v2, v4, 34, 0
	v_lshl_add_u32 v2, v72, 1, v2
	ds_write_b128 v2, v[74:77]
	v_mul_f16_e32 v74, 0xb1e1, v78
	v_fma_f16 v75, v73, s15, -v74
	v_mul_f16_e32 v76, 0x35c8, v81
	v_add_f16_e32 v75, v75, v71
	v_fma_f16 v77, v80, s10, -v76
	v_add_f16_e32 v75, v77, v75
	v_mul_f16_e32 v77, 0xb836, v84
	v_fma_f16 v125, v83, s9, -v77
	v_add_f16_e32 v75, v125, v75
	v_mul_f16_e32 v125, 0x3964, v87
	;; [unrolled: 3-line block ×6, first 2 shown]
	v_fma_f16 v130, v98, s6, -v129
	v_add_f16_e32 v130, v130, v75
	v_fma_f16 v75, v73, s10, v101
	v_add_f16_e32 v75, v75, v71
	v_fma_f16 v101, v80, s11, v102
	;; [unrolled: 2-line block ×8, first 2 shown]
	v_add_f16_e32 v101, v101, v75
	v_pk_mul_f16 v75, v73, s13 op_sel_hi:[0,1]
	s_mov_b32 s63, 0xffff
	v_add_f16_e32 v102, v117, v75
	v_bfi_b32 v74, s63, v74, v117
	v_mul_f16_e32 v117, 0xbbdd, v73
	v_bfi_b32 v75, s63, v117, v75
	v_pk_mul_f16 v103, v80, s14 op_sel_hi:[0,1]
	v_pk_add_f16 v74, v74, v75
	v_bfi_b32 v75, s63, v76, v118
	v_mul_f16_e32 v76, 0x3b76, v80
	v_add_f16_e32 v102, v102, v71
	v_add_f16_e32 v104, v118, v103
	v_bfi_b32 v76, s63, v76, v103
	v_add_f16_e32 v102, v104, v102
	v_pk_mul_f16 v104, v83, s16 op_sel_hi:[0,1]
	v_pk_add_f16 v75, v75, v76
	v_pk_add_f16 v74, v74, v71 op_sel_hi:[1,0]
	v_mul_f16_e32 v76, 0xbacd, v83
	v_add_f16_e32 v105, v119, v104
	v_pk_add_f16 v74, v75, v74
	v_bfi_b32 v75, s63, v77, v119
	v_bfi_b32 v76, s63, v76, v104
	v_add_f16_e32 v102, v105, v102
	v_pk_mul_f16 v105, v86, s17 op_sel_hi:[0,1]
	v_pk_add_f16 v75, v75, v76
	v_mul_f16_e32 v76, 0x39e9, v86
	v_add_f16_e32 v106, v120, v105
	v_pk_add_f16 v74, v75, v74
	v_bfi_b32 v75, s63, v125, v120
	v_bfi_b32 v76, s63, v76, v105
	v_add_f16_e32 v102, v102, v106
	v_pk_mul_f16 v106, v89, s18 op_sel_hi:[0,1]
	v_pk_add_f16 v75, v75, v76
	;; [unrolled: 8-line block ×5, first 2 shown]
	v_mul_f16_e32 v76, 0x2de8, v98
	v_pk_add_f16 v74, v74, v75
	v_bfi_b32 v75, s63, v129, v124
	v_bfi_b32 v76, s63, v76, v131
	v_pk_add_f16 v75, v75, v76
	v_mul_f16_e32 v76, 0xb461, v73
	v_pk_mul_f16 v77, v73, s46 op_sel_hi:[0,1]
	s_mov_b32 s64, 0x39e93722
	v_pk_add_f16 v74, v75, v74
	v_bfi_b32 v75, s63, v79, v109
	v_bfi_b32 v76, s63, v76, v77
	v_mul_f16_e32 v77, 0xbacd, v80
	v_pk_mul_f16 v79, v80, s48 op_sel_hi:[0,1]
	s_mov_b32 s72, 0xb964bb29
	v_pk_mul_f16 v73, v73, s64 op_sel_hi:[0,1]
	v_pk_add_f16 v75, v75, v76
	v_bfi_b32 v76, s63, v82, v110
	v_bfi_b32 v77, s63, v77, v79
	v_pk_fma_f16 v73, v78, s72, v73 op_sel_hi:[0,1,1]
	s_mov_b32 s65, 0x2de8b8d2
	v_pk_add_f16 v76, v76, v77
	v_pk_add_f16 v75, v75, v71 op_sel_hi:[1,0]
	v_mul_f16_e32 v77, 0x39e9, v83
	v_pk_mul_f16 v79, v83, s50 op_sel_hi:[0,1]
	v_pk_add_f16 v71, v73, v71 op_sel_hi:[1,0]
	s_mov_b32 s73, 0xbbf7ba62
	v_pk_mul_f16 v73, v80, s65 op_sel_hi:[0,1]
	v_pk_add_f16 v75, v76, v75
	v_bfi_b32 v76, s63, v85, v111
	v_bfi_b32 v77, s63, v77, v79
	v_pk_fma_f16 v73, v81, s73, v73 op_sel_hi:[0,1,1]
	s_mov_b32 s66, 0xb8d2bbdd
	v_pk_add_f16 v76, v76, v77
	v_mul_f16_e32 v77, 0x3722, v86
	v_pk_mul_f16 v79, v86, s52 op_sel_hi:[0,1]
	v_pk_add_f16 v71, v73, v71
	s_mov_b32 s74, 0xba6231e1
	v_pk_mul_f16 v73, v83, s66 op_sel_hi:[0,1]
	v_pk_add_f16 v75, v76, v75
	v_bfi_b32 v76, s63, v88, v112
	v_bfi_b32 v77, s63, v77, v79
	v_pk_fma_f16 v73, v84, s74, v73 op_sel_hi:[0,1,1]
	s_mov_b32 s67, 0xbbddb461
	v_pk_add_f16 v76, v76, v77
	v_mul_f16_e32 v77, 0xbbdd, v89
	v_pk_mul_f16 v82, v89, s54 op_sel_hi:[0,1]
	v_pk_add_f16 v71, v73, v71
	s_mov_b32 s75, 0xb1e13bb2
	v_pk_mul_f16 v73, v86, s67 op_sel_hi:[0,1]
	v_bfi_b32 v79, s63, v91, v113
	v_bfi_b32 v77, s63, v77, v82
	v_pk_fma_f16 v73, v87, s75, v73 op_sel_hi:[0,1,1]
	s_mov_b32 s68, 0xbacd39e9
	v_pk_add_f16 v75, v75, v76
	v_pk_add_f16 v77, v79, v77
	v_pk_add_f16 v71, v71, v73
	s_mov_b32 s76, 0x38363964
	v_pk_mul_f16 v73, v89, s68 op_sel_hi:[0,1]
	v_mul_f16_e32 v76, 0x2de8, v92
	v_pk_add_f16 v75, v75, v77
	v_pk_mul_f16 v77, v92, s56 op_sel_hi:[0,1]
	v_pk_fma_f16 v73, v90, s76, v73 op_sel_hi:[0,1,1]
	s_mov_b32 s69, 0xb4613b76
	v_bfi_b32 v85, s63, v94, v114
	v_bfi_b32 v76, s63, v76, v77
	v_pk_add_f16 v71, v71, v73
	s_mov_b32 s77, 0x3bb2b5c8
	v_pk_mul_f16 v73, v92, s69 op_sel_hi:[0,1]
	v_mul_f16_e32 v82, 0x3b76, v95
	v_pk_mul_f16 v88, v95, s58 op_sel_hi:[0,1]
	v_pk_add_f16 v76, v85, v76
	v_pk_fma_f16 v73, v93, s77, v73 op_sel_hi:[0,1,1]
	s_mov_b32 s70, 0x37222de8
	v_pk_add_f16 v75, v76, v75
	v_bfi_b32 v76, s63, v97, v115
	v_bfi_b32 v82, s63, v82, v88
	v_pk_add_f16 v71, v73, v71
	s_mov_b32 s78, 0x3b29bbf7
	v_pk_mul_f16 v73, v95, s70 op_sel_hi:[0,1]
	v_mul_f16_e32 v79, 0xb8d2, v98
	v_pk_mul_f16 v77, v98, s60 op_sel_hi:[0,1]
	v_pk_add_f16 v76, v76, v82
	v_pk_fma_f16 v73, v96, s78, v73 op_sel_hi:[0,1,1]
	s_mov_b32 s71, 0x3b76bacd
	v_add_f16_e32 v132, v124, v131
	v_pk_add_f16 v75, v75, v76
	v_bfi_b32 v76, s63, v100, v116
	v_bfi_b32 v77, s63, v79, v77
	v_pk_add_f16 v71, v71, v73
	s_mov_b32 s79, 0x35c8b836
	v_pk_mul_f16 v73, v98, s71 op_sel_hi:[0,1]
	v_add_f16_e32 v102, v132, v102
	v_pk_add_f16 v76, v76, v77
	v_pk_fma_f16 v73, v99, s79, v73 op_sel_hi:[0,1,1]
	v_pk_add_f16 v76, v76, v75
	v_pk_add_f16 v77, v73, v71
	v_alignbit_b32 v75, v102, v74, 16
	v_pack_b32_f16 v74, v130, v74
	v_cmp_gt_u32_e64 s[0:1], 4, v4
	ds_write_b128 v2, v[74:77] offset:16
	ds_write_b16 v2, v101 offset:32
	s_and_saveexec_b64 s[2:3], s[0:1]
	s_cbranch_execz .LBB0_14
; %bb.13:
	v_sub_f16_e32 v79, v39, v41
	v_add_f16_e32 v73, v22, v38
	v_mul_f16_e32 v80, 0xb1e1, v79
	v_sub_f16_e32 v83, v35, v40
	v_add_f16_e32 v81, v18, v34
	v_mul_f16_e32 v84, 0x35c8, v83
	v_sub_f16_e32 v87, v33, v36
	v_fma_f16 v74, v73, s15, -v80
	v_add_f16_e32 v85, v17, v29
	v_mul_f16_e32 v88, 0xb836, v87
	v_sub_f16_e32 v91, v31, v32
	v_add_f16_e32 v74, v5, v74
	v_fma_f16 v75, v81, s10, -v84
	v_add_f16_e32 v89, v15, v26
	v_mul_f16_e32 v92, 0x3964, v91
	v_sub_f16_e32 v95, v28, v30
	v_add_f16_e32 v74, v74, v75
	;; [unrolled: 5-line block ×5, first 2 shown]
	v_fma_f16 v75, v97, s12, -v100
	v_add_f16_e32 v105, v9, v10
	v_mul_f16_e32 v108, 0x3bf7, v107
	v_add_f16_e32 v74, v74, v75
	v_fma_f16 v75, v101, s8, -v104
	v_add_f16_e32 v74, v74, v75
	v_fma_f16 v75, v105, s6, -v108
	v_mul_f16_e32 v111, 0xbbb2, v79
	v_add_f16_e32 v109, v74, v75
	v_mul_f16_e32 v113, 0x3836, v83
	v_fma_f16 v74, v73, s8, -v111
	v_mul_f16_e32 v115, 0x3964, v87
	v_add_f16_e32 v74, v5, v74
	v_fma_f16 v75, v81, s9, -v113
	v_mul_f16_e32 v117, 0xbb29, v91
	v_add_f16_e32 v74, v74, v75
	;; [unrolled: 3-line block ×6, first 2 shown]
	v_fma_f16 v75, v101, s10, -v123
	v_add_f16_e32 v74, v74, v75
	v_fma_f16 v75, v105, s7, -v125
	v_add_f16_e32 v74, v74, v75
	v_pk_mul_f16 v75, v79, s33 op_sel_hi:[0,1]
	v_pk_mul_f16 v76, v83, s35 op_sel_hi:[0,1]
	v_fma_f16 v131, v73, s10, v75
	v_pk_fma_f16 v75, v73, s29, v75 op_sel_hi:[0,1,1] neg_lo:[0,0,1] neg_hi:[0,0,1]
	v_pk_mul_f16 v77, v87, s37 op_sel_hi:[0,1]
	v_fma_f16 v132, v81, s11, v76
	v_pk_add_f16 v75, v5, v75 op_sel_hi:[0,1]
	v_pk_fma_f16 v76, v81, s30, v76 op_sel_hi:[0,1,1] neg_lo:[0,0,1] neg_hi:[0,0,1]
	v_pk_mul_f16 v126, v91, s39 op_sel_hi:[0,1]
	v_add_f16_e32 v131, v5, v131
	v_pk_add_f16 v75, v75, v76
	v_pk_fma_f16 v76, v85, s34, v77 op_sel_hi:[0,1,1] neg_lo:[0,0,1] neg_hi:[0,0,1]
	v_pk_mul_f16 v127, v95, s41 op_sel_hi:[0,1]
	v_add_f16_e32 v131, v131, v132
	v_fma_f16 v132, v85, s12, v77
	v_pk_add_f16 v75, v75, v76
	v_pk_fma_f16 v76, v89, s36, v126 op_sel_hi:[0,1,1] neg_lo:[0,0,1] neg_hi:[0,0,1]
	v_pk_mul_f16 v128, v99, s43 op_sel_hi:[0,1]
	v_add_f16_e32 v131, v131, v132
	v_fma_f16 v132, v89, s6, v126
	;; [unrolled: 5-line block ×4, first 2 shown]
	v_pk_add_f16 v75, v75, v76
	v_pk_fma_f16 v76, v101, s42, v129 op_sel_hi:[0,1,1] neg_lo:[0,0,1] neg_hi:[0,0,1]
	v_add_f16_e32 v131, v131, v132
	v_fma_f16 v132, v101, s9, v129
	v_pk_add_f16 v75, v75, v76
	v_pk_fma_f16 v76, v105, s44, v130 op_sel_hi:[0,1,1] neg_lo:[0,0,1] neg_hi:[0,0,1]
	v_pk_mul_f16 v128, v79, s49 op_sel_hi:[0,1]
	v_add_f16_e32 v131, v131, v132
	v_fma_f16 v132, v105, s15, v130
	v_pk_add_f16 v126, v75, v76
	v_pk_mul_f16 v130, v83, s51 op_sel_hi:[0,1]
	v_pk_fma_f16 v75, v73, s46, v128 op_sel_hi:[0,1,1] neg_lo:[0,0,1] neg_hi:[0,0,1]
	v_pk_mul_f16 v133, v87, s53 op_sel_hi:[0,1]
	v_pk_add_f16 v75, v5, v75 op_sel_hi:[0,1]
	v_pk_fma_f16 v76, v81, s48, v130 op_sel_hi:[0,1,1] neg_lo:[0,0,1] neg_hi:[0,0,1]
	v_pk_mul_f16 v135, v91, s55 op_sel_hi:[0,1]
	v_pk_add_f16 v75, v75, v76
	v_pk_fma_f16 v76, v85, s50, v133 op_sel_hi:[0,1,1] neg_lo:[0,0,1] neg_hi:[0,0,1]
	v_pk_mul_f16 v137, v95, s57 op_sel_hi:[0,1]
	v_pk_add_f16 v75, v75, v76
	v_pk_fma_f16 v76, v89, s52, v135 op_sel_hi:[0,1,1] neg_lo:[0,0,1] neg_hi:[0,0,1]
	v_pk_mul_f16 v139, v99, s59 op_sel_hi:[0,1]
	v_pk_add_f16 v75, v75, v76
	v_pk_fma_f16 v76, v93, s54, v137 op_sel_hi:[0,1,1] neg_lo:[0,0,1] neg_hi:[0,0,1]
	v_pk_mul_f16 v141, v103, s61 op_sel_hi:[0,1]
	v_pk_add_f16 v75, v75, v76
	v_pk_fma_f16 v76, v97, s56, v139 op_sel_hi:[0,1,1] neg_lo:[0,0,1] neg_hi:[0,0,1]
	v_pk_mul_f16 v143, v107, s62 op_sel_hi:[0,1]
	v_pk_add_f16 v75, v75, v76
	v_pk_fma_f16 v76, v101, s58, v141 op_sel_hi:[0,1,1] neg_lo:[0,0,1] neg_hi:[0,0,1]
	v_pk_add_f16 v75, v75, v76
	v_pk_fma_f16 v76, v105, s60, v143 op_sel_hi:[0,1,1] neg_lo:[0,0,1] neg_hi:[0,0,1]
	v_pk_mul_f16 v144, v73, s13 op_sel_hi:[0,1]
	v_pk_mul_f16 v145, v79, s19 op_sel_hi:[0,1]
	v_add_f16_e32 v71, v5, v22
	v_pk_add_f16 v75, v75, v76
	v_pk_mul_f16 v146, v81, s14 op_sel_hi:[0,1]
	v_pk_mul_f16 v147, v83, s21 op_sel_hi:[0,1]
	v_add_f16_e32 v76, v145, v144
	v_add_f16_e32 v71, v71, v18
	v_pk_mul_f16 v148, v85, s16 op_sel_hi:[0,1]
	v_pk_mul_f16 v149, v87, s22 op_sel_hi:[0,1]
	v_add_f16_e32 v76, v5, v76
	v_add_f16_e32 v77, v147, v146
	v_add_f16_e32 v71, v71, v17
	v_pk_mul_f16 v150, v89, s17 op_sel_hi:[0,1]
	v_pk_mul_f16 v151, v91, s24 op_sel_hi:[0,1]
	v_add_f16_e32 v76, v76, v77
	;; [unrolled: 5-line block ×6, first 2 shown]
	v_add_f16_e32 v77, v157, v156
	v_add_f16_e32 v71, v71, v9
	;; [unrolled: 1-line block ×6, first 2 shown]
	v_pk_fma_f16 v76, v73, s13, v145 op_sel_hi:[0,1,1] neg_lo:[0,0,1] neg_hi:[0,0,1]
	v_add_f16_e32 v71, v13, v71
	v_pk_add_f16 v76, v5, v76 op_sel_hi:[0,1]
	v_pk_fma_f16 v77, v81, s14, v147 op_sel_hi:[0,1,1] neg_lo:[0,0,1] neg_hi:[0,0,1]
	v_add_f16_e32 v71, v16, v71
	v_pk_add_f16 v76, v76, v77
	v_pk_fma_f16 v77, v85, s16, v149 op_sel_hi:[0,1,1] neg_lo:[0,0,1] neg_hi:[0,0,1]
	v_add_f16_e32 v71, v21, v71
	v_pk_add_f16 v76, v76, v77
	v_pk_fma_f16 v77, v89, s17, v151 op_sel_hi:[0,1,1] neg_lo:[0,0,1] neg_hi:[0,0,1]
	v_add_f16_e32 v71, v26, v71
	v_pk_add_f16 v76, v76, v77
	v_pk_fma_f16 v77, v93, s18, v153 op_sel_hi:[0,1,1] neg_lo:[0,0,1] neg_hi:[0,0,1]
	v_add_f16_e32 v71, v29, v71
	v_pk_add_f16 v76, v76, v77
	v_pk_fma_f16 v77, v97, s20, v155 op_sel_hi:[0,1,1] neg_lo:[0,0,1] neg_hi:[0,0,1]
	v_add_f16_e32 v71, v34, v71
	v_pk_add_f16 v76, v76, v77
	v_pk_fma_f16 v77, v101, s23, v157 op_sel_hi:[0,1,1] neg_lo:[0,0,1] neg_hi:[0,0,1]
	v_add_f16_e32 v71, v38, v71
	v_pk_add_f16 v76, v76, v77
	v_pk_fma_f16 v77, v105, s25, v159 op_sel_hi:[0,1,1] neg_lo:[0,0,1] neg_hi:[0,0,1]
	v_mul_f16_e32 v78, 0xbbdd, v73
	v_pk_add_f16 v77, v76, v77
	v_alignbit_b32 v76, v74, v75, 16
	v_alignbit_b32 v75, v75, v126, 16
	v_pack_b32_f16 v74, v71, v126
	v_mul_f16_e32 v82, 0x3b76, v81
	ds_write_b128 v2, v[74:77] offset:578
	v_bfi_b32 v71, s63, v80, v145
	v_bfi_b32 v74, s63, v78, v144
	v_pk_add_f16 v71, v71, v74
	v_bfi_b32 v74, s63, v84, v147
	v_bfi_b32 v75, s63, v82, v146
	v_mul_f16_e32 v86, 0xbacd, v85
	v_pk_add_f16 v71, v5, v71 op_sel_hi:[0,1]
	v_pk_add_f16 v74, v74, v75
	v_bfi_b32 v75, s63, v86, v148
	v_pk_add_f16 v71, v71, v74
	v_bfi_b32 v74, s63, v88, v149
	v_mul_f16_e32 v90, 0x39e9, v89
	v_pk_add_f16 v74, v74, v75
	v_bfi_b32 v75, s63, v90, v150
	v_pk_add_f16 v71, v71, v74
	v_bfi_b32 v74, s63, v92, v151
	v_mul_f16_e32 v94, 0xb8d2, v93
	;; [unrolled: 5-line block ×6, first 2 shown]
	v_pk_mul_f16 v127, v73, s46 op_sel_hi:[0,1]
	v_pk_add_f16 v74, v74, v75
	v_bfi_b32 v75, s63, v110, v127
	v_pk_add_f16 v71, v71, v74
	v_bfi_b32 v74, s63, v111, v128
	v_pk_mul_f16 v73, v73, s64 op_sel_hi:[0,1]
	v_mul_f16_e32 v112, 0xbacd, v81
	v_pk_mul_f16 v129, v81, s48 op_sel_hi:[0,1]
	v_pk_add_f16 v74, v74, v75
	v_pk_fma_f16 v73, v79, s72, v73 op_sel_hi:[0,1,1]
	v_pk_add_f16 v74, v5, v74 op_sel_hi:[0,1]
	v_bfi_b32 v75, s63, v113, v130
	v_bfi_b32 v76, s63, v112, v129
	v_pk_add_f16 v5, v5, v73 op_sel_hi:[0,1]
	v_pk_mul_f16 v73, v81, s65 op_sel_hi:[0,1]
	v_mul_f16_e32 v114, 0x39e9, v85
	v_add_f16_e32 v131, v131, v132
	v_pk_mul_f16 v132, v85, s50 op_sel_hi:[0,1]
	v_pk_add_f16 v75, v75, v76
	v_pk_fma_f16 v73, v83, s73, v73 op_sel_hi:[0,1,1]
	v_pk_add_f16 v74, v74, v75
	v_bfi_b32 v75, s63, v115, v133
	v_bfi_b32 v76, s63, v114, v132
	v_pk_add_f16 v5, v5, v73
	v_pk_mul_f16 v73, v85, s66 op_sel_hi:[0,1]
	v_mul_f16_e32 v116, 0x3722, v89
	v_pk_mul_f16 v134, v89, s52 op_sel_hi:[0,1]
	v_pk_add_f16 v75, v75, v76
	v_pk_fma_f16 v73, v87, s74, v73 op_sel_hi:[0,1,1]
	v_pk_add_f16 v74, v74, v75
	v_bfi_b32 v75, s63, v117, v135
	v_bfi_b32 v76, s63, v116, v134
	v_pk_add_f16 v5, v5, v73
	v_pk_mul_f16 v73, v89, s67 op_sel_hi:[0,1]
	v_mul_f16_e32 v118, 0xbbdd, v93
	;; [unrolled: 9-line block ×5, first 2 shown]
	v_pk_mul_f16 v142, v105, s60 op_sel_hi:[0,1]
	v_pk_add_f16 v75, v75, v76
	v_pk_fma_f16 v73, v103, s78, v73 op_sel_hi:[0,1,1]
	v_pk_add_f16 v74, v74, v75
	v_bfi_b32 v75, s63, v125, v143
	v_bfi_b32 v76, s63, v124, v142
	v_pk_add_f16 v5, v5, v73
	v_pk_mul_f16 v73, v105, s71 op_sel_hi:[0,1]
	v_pk_add_f16 v75, v75, v76
	v_pk_fma_f16 v73, v107, s79, v73 op_sel_hi:[0,1,1]
	v_pk_add_f16 v76, v74, v75
	v_pk_add_f16 v77, v5, v73
	v_alignbit_b32 v75, v160, v71, 16
	v_pack_b32_f16 v74, v109, v71
	ds_write_b128 v2, v[74:77] offset:594
	ds_write_b16 v2, v131 offset:610
.LBB0_14:
	s_or_b64 exec, exec, s[2:3]
	v_add_f16_e32 v5, v0, v64
	v_add_f16_e32 v5, v5, v63
	;; [unrolled: 1-line block ×15, first 2 shown]
	v_sub_f16_e32 v49, v49, v54
	v_add_f16_e32 v73, v5, v70
	v_add_f16_e32 v5, v64, v70
	v_mul_f16_e32 v64, 0xbbb2, v49
	v_sub_f16_e32 v48, v48, v52
	v_fma_f16 v70, v5, s8, v64
	v_add_f16_e32 v63, v63, v67
	v_mul_f16_e32 v75, 0x3836, v48
	v_add_f16_e32 v70, v70, v0
	v_mul_f16_e32 v71, 0xb1e1, v49
	v_fma_f16 v67, v63, s9, v75
	v_fma_f16 v74, v5, s15, v71
	v_fma_f16 v71, v5, s15, -v71
	v_add_f16_e32 v67, v67, v70
	v_mul_f16_e32 v70, 0x35c8, v48
	v_sub_f16_e32 v47, v47, v51
	v_add_f16_e32 v71, v71, v0
	v_fma_f16 v76, v63, s10, v70
	v_fma_f16 v70, v63, s10, -v70
	v_add_f16_e32 v62, v62, v66
	v_mul_f16_e32 v66, 0x3964, v47
	v_add_f16_e32 v70, v70, v71
	v_fma_f16 v71, v62, s11, v66
	v_add_f16_e32 v74, v74, v0
	v_add_f16_e32 v67, v71, v67
	v_mul_f16_e32 v71, 0xb836, v47
	v_sub_f16_e32 v46, v46, v55
	v_add_f16_e32 v74, v76, v74
	v_fma_f16 v76, v62, s9, v71
	v_fma_f16 v71, v62, s9, -v71
	v_add_f16_e32 v60, v69, v60
	v_mul_f16_e32 v69, 0xbb29, v46
	v_add_f16_e32 v70, v71, v70
	v_fma_f16 v71, v60, s12, v69
	v_add_f16_e32 v67, v67, v71
	v_mul_f16_e32 v71, 0x3964, v46
	v_sub_f16_e32 v44, v44, v53
	v_add_f16_e32 v74, v76, v74
	v_fma_f16 v76, v60, s11, v71
	v_fma_f16 v71, v60, s11, -v71
	v_add_f16_e32 v59, v68, v59
	v_mul_f16_e32 v68, 0xb1e1, v44
	v_add_f16_e32 v70, v70, v71
	v_fma_f16 v71, v59, s15, v68
	;; [unrolled: 10-line block ×4, first 2 shown]
	v_add_f16_e32 v71, v67, v71
	v_mul_f16_e32 v67, 0xbbb2, v42
	v_add_f16_e32 v74, v76, v74
	v_fma_f16 v76, v57, s8, v67
	v_fma_f16 v67, v57, s8, -v67
	v_sub_f16_e32 v8, v8, v37
	v_pk_mul_f16 v37, v49, s33 op_sel_hi:[0,1]
	v_add_f16_e32 v70, v70, v67
	v_add_f16_e32 v1, v1, v56
	v_fma_f16 v56, v5, s10, -v37
	v_pk_fma_f16 v37, v5, s29, v37 op_sel_hi:[0,1,1]
	v_pk_mul_f16 v67, v48, s35 op_sel_hi:[0,1]
	v_add_f16_e32 v74, v74, v76
	v_pk_add_f16 v37, v37, v0 op_sel_hi:[1,0]
	v_fma_f16 v76, v63, s11, -v67
	v_pk_fma_f16 v67, v63, s30, v67 op_sel_hi:[0,1,1]
	v_add_f16_e32 v56, v56, v0
	v_pk_add_f16 v37, v67, v37
	v_pk_mul_f16 v67, v47, s37 op_sel_hi:[0,1]
	v_add_f16_e32 v56, v76, v56
	v_fma_f16 v76, v62, s12, -v67
	v_pk_fma_f16 v67, v62, s34, v67 op_sel_hi:[0,1,1]
	v_pk_add_f16 v37, v67, v37
	v_pk_mul_f16 v67, v46, s39 op_sel_hi:[0,1]
	v_add_f16_e32 v56, v76, v56
	v_fma_f16 v76, v60, s6, -v67
	v_pk_fma_f16 v67, v60, s36, v67 op_sel_hi:[0,1,1]
	v_pk_add_f16 v37, v37, v67
	v_pk_mul_f16 v67, v44, s41 op_sel_hi:[0,1]
	v_add_f16_e32 v56, v56, v76
	v_fma_f16 v76, v59, s8, -v67
	v_pk_fma_f16 v67, v59, s38, v67 op_sel_hi:[0,1,1]
	v_pk_add_f16 v37, v37, v67
	v_pk_mul_f16 v67, v43, s43 op_sel_hi:[0,1]
	v_add_f16_e32 v56, v56, v76
	v_fma_f16 v76, v58, s7, -v67
	v_pk_fma_f16 v67, v58, s40, v67 op_sel_hi:[0,1,1]
	v_pk_add_f16 v37, v67, v37
	v_pk_mul_f16 v67, v42, s45 op_sel_hi:[0,1]
	v_add_f16_e32 v56, v76, v56
	v_fma_f16 v76, v57, s9, -v67
	v_pk_fma_f16 v67, v57, s42, v67 op_sel_hi:[0,1,1]
	v_add_f16_e32 v56, v56, v76
	v_pk_add_f16 v37, v37, v67
	v_pk_mul_f16 v67, v1, s44 op_sel_hi:[0,1]
	v_pk_mul_f16 v76, v8, s47 op_sel_hi:[0,1]
	v_sub_f16_e32 v67, v67, v76
	v_pk_fma_f16 v77, v1, s44, v76 op_sel_hi:[0,1,1]
	v_add_f16_e32 v76, v67, v56
	v_pk_mul_f16 v56, v49, s49 op_sel_hi:[0,1]
	v_pk_fma_f16 v67, v5, s46, v56 op_sel_hi:[0,1,1]
	v_pk_mul_f16 v79, v48, s51 op_sel_hi:[0,1]
	v_pk_add_f16 v67, v67, v0 op_sel_hi:[1,0]
	v_pk_fma_f16 v80, v63, s48, v79 op_sel_hi:[0,1,1]
	v_pk_mul_f16 v81, v47, s53 op_sel_hi:[0,1]
	v_pk_add_f16 v67, v80, v67
	v_pk_fma_f16 v82, v62, s50, v81 op_sel_hi:[0,1,1]
	v_pk_mul_f16 v83, v46, s55 op_sel_hi:[0,1]
	v_pk_add_f16 v67, v82, v67
	;; [unrolled: 3-line block ×5, first 2 shown]
	v_pk_fma_f16 v90, v57, s58, v89 op_sel_hi:[0,1,1]
	s_mov_b32 s8, 0x39643b29
	v_pk_add_f16 v90, v67, v90
	v_pk_mul_f16 v67, v49, s8 op_sel_hi:[0,1]
	s_mov_b32 s9, 0x3bf73a62
	v_pk_fma_f16 v67, v5, s64, v67 op_sel_hi:[0,1,1]
	v_pk_mul_f16 v94, v48, s9 op_sel_hi:[0,1]
	v_mul_f16_e32 v54, 0xb461, v5
	v_pk_add_f16 v77, v77, v37
	v_pk_mul_f16 v37, v5, s46 op_sel_hi:[0,1]
	v_pk_add_f16 v67, v67, v0 op_sel_hi:[1,0]
	v_pk_fma_f16 v94, v63, s65, v94 op_sel_hi:[0,1,1]
	s_mov_b32 s10, 0x3a62b1e1
	v_mul_f16_e32 v52, 0xbacd, v63
	v_pk_mul_f16 v78, v63, s48 op_sel_hi:[0,1]
	v_pk_add_f16 v67, v94, v67
	v_pk_mul_f16 v94, v47, s10 op_sel_hi:[0,1]
	v_bfi_b32 v37, s63, v54, v37
	v_bfi_b32 v54, s63, v64, v56
	v_pk_fma_f16 v94, v62, s66, v94 op_sel_hi:[0,1,1]
	s_mov_b32 s11, 0x31e1bbb2
	v_pk_add_f16 v37, v37, v54 neg_lo:[0,1] neg_hi:[0,1]
	v_bfi_b32 v52, s63, v52, v78
	v_bfi_b32 v54, s63, v75, v79
	v_mul_f16_e32 v51, 0x39e9, v62
	v_pk_mul_f16 v80, v62, s50 op_sel_hi:[0,1]
	v_pk_add_f16 v67, v94, v67
	v_pk_mul_f16 v94, v46, s11 op_sel_hi:[0,1]
	v_pk_add_f16 v37, v37, v0 op_sel_hi:[1,0]
	v_pk_add_f16 v52, v52, v54 neg_lo:[0,1] neg_hi:[0,1]
	v_pk_fma_f16 v94, v60, s67, v94 op_sel_hi:[0,1,1]
	s_mov_b32 s12, 0xb836b964
	v_pk_add_f16 v37, v52, v37
	v_bfi_b32 v51, s63, v51, v80
	v_bfi_b32 v52, s63, v66, v81
	v_mul_f16_e32 v55, 0x3722, v60
	v_pk_mul_f16 v82, v60, s52 op_sel_hi:[0,1]
	v_pk_add_f16 v67, v67, v94
	v_pk_mul_f16 v94, v44, s12 op_sel_hi:[0,1]
	v_pk_add_f16 v51, v51, v52 neg_lo:[0,1] neg_hi:[0,1]
	v_pk_fma_f16 v94, v59, s68, v94 op_sel_hi:[0,1,1]
	s_mov_b32 s15, 0xbbb235c8
	v_pk_add_f16 v37, v51, v37
	v_bfi_b32 v51, s63, v55, v82
	v_bfi_b32 v52, s63, v69, v83
	v_mul_f16_e32 v53, 0xbbdd, v59
	v_pk_mul_f16 v84, v59, s54 op_sel_hi:[0,1]
	v_pk_add_f16 v67, v67, v94
	v_pk_mul_f16 v94, v43, s15 op_sel_hi:[0,1]
	;; [unrolled: 10-line block ×3, first 2 shown]
	v_pk_add_f16 v51, v51, v52 neg_lo:[0,1] neg_hi:[0,1]
	v_pk_fma_f16 v94, v57, s70, v94 op_sel_hi:[0,1,1]
	s_mov_b32 s30, 0xb5c83836
	v_pk_add_f16 v37, v37, v51
	v_bfi_b32 v45, s63, v45, v86
	v_bfi_b32 v51, s63, v61, v87
	v_mul_f16_e32 v50, 0x3b76, v57
	v_pk_mul_f16 v88, v57, s58 op_sel_hi:[0,1]
	v_pk_mul_f16 v92, v8, s62 op_sel_hi:[0,1]
	v_pk_add_f16 v67, v67, v94
	v_pk_mul_f16 v94, v8, s30 op_sel_hi:[0,1]
	v_pk_add_f16 v45, v45, v51 neg_lo:[0,1] neg_hi:[0,1]
	v_pk_fma_f16 v93, v1, s60, v92 op_sel_hi:[0,1,1]
	v_pk_fma_f16 v94, v1, s71, v94 op_sel_hi:[0,1,1]
	v_pk_add_f16 v37, v45, v37
	v_bfi_b32 v45, s63, v50, v88
	v_bfi_b32 v50, s63, v65, v89
	v_pk_mul_f16 v91, v1, s60 op_sel_hi:[0,1]
	v_pk_add_f16 v67, v94, v67
	v_pk_add_f16 v90, v93, v90
	v_mul_f16_e32 v93, 0xb8d2, v1
	v_mul_f16_e32 v94, 0xba62, v8
	v_pk_add_f16 v45, v45, v50 neg_lo:[0,1] neg_hi:[0,1]
	v_bfi_b32 v50, s63, v94, v92
	v_pk_add_f16 v37, v37, v45
	v_bfi_b32 v45, s63, v93, v91
	v_pk_add_f16 v45, v45, v50 neg_lo:[0,1] neg_hi:[0,1]
	v_pk_mul_f16 v48, v48, s21 op_sel_hi:[0,1]
	v_pk_add_f16 v66, v45, v37
	v_pk_mul_f16 v37, v49, s19 op_sel_hi:[0,1]
	v_pk_fma_f16 v45, v5, s13, v37 op_sel_hi:[0,1,1]
	v_pk_add_f16 v45, v45, v0 op_sel_hi:[1,0]
	v_pk_fma_f16 v49, v63, s14, v48 op_sel_hi:[0,1,1]
	v_pk_mul_f16 v47, v47, s22 op_sel_hi:[0,1]
	v_pk_fma_f16 v5, v5, s13, v37 op_sel_hi:[0,1,1] neg_lo:[0,0,1] neg_hi:[0,0,1]
	v_pk_add_f16 v45, v49, v45
	v_pk_fma_f16 v49, v62, s16, v47 op_sel_hi:[0,1,1]
	v_pk_mul_f16 v46, v46, s24 op_sel_hi:[0,1]
	v_pk_add_f16 v0, v5, v0 op_sel_hi:[1,0]
	v_pk_fma_f16 v5, v63, s14, v48 op_sel_hi:[0,1,1] neg_lo:[0,0,1] neg_hi:[0,0,1]
	v_pk_add_f16 v45, v49, v45
	v_pk_fma_f16 v49, v60, s17, v46 op_sel_hi:[0,1,1]
	v_pk_mul_f16 v44, v44, s26 op_sel_hi:[0,1]
	v_pk_add_f16 v0, v5, v0
	v_pk_fma_f16 v5, v62, s16, v47 op_sel_hi:[0,1,1] neg_lo:[0,0,1] neg_hi:[0,0,1]
	v_pk_add_f16 v45, v45, v49
	v_pk_fma_f16 v49, v59, s18, v44 op_sel_hi:[0,1,1]
	v_pk_mul_f16 v43, v43, s27 op_sel_hi:[0,1]
	v_pk_add_f16 v0, v5, v0
	;; [unrolled: 5-line block ×3, first 2 shown]
	v_pk_fma_f16 v5, v59, s18, v44 op_sel_hi:[0,1,1] neg_lo:[0,0,1] neg_hi:[0,0,1]
	v_pk_add_f16 v45, v49, v45
	v_pk_fma_f16 v49, v57, s23, v42 op_sel_hi:[0,1,1]
	v_pk_add_f16 v0, v0, v5
	v_pk_fma_f16 v5, v58, s20, v43 op_sel_hi:[0,1,1] neg_lo:[0,0,1] neg_hi:[0,0,1]
	v_pk_add_f16 v45, v45, v49
	v_pk_mul_f16 v49, v8, s31 op_sel_hi:[0,1]
	v_pk_add_f16 v0, v5, v0
	v_pk_fma_f16 v5, v57, s23, v42 op_sel_hi:[0,1,1] neg_lo:[0,0,1] neg_hi:[0,0,1]
	v_pk_add_f16 v0, v0, v5
	v_pk_fma_f16 v5, v1, s25, v49 op_sel_hi:[0,1,1] neg_lo:[0,0,1] neg_hi:[0,0,1]
	v_pk_add_f16 v63, v5, v0
	v_mul_f16_e32 v0, 0x3bf7, v8
	v_fma_f16 v5, v1, s6, v0
	v_fma_f16 v0, v1, s6, -v0
	v_add_f16_e32 v65, v0, v70
	v_lshlrev_b32_e32 v0, 1, v72
	v_lshlrev_b32_e32 v8, 1, v4
	v_fma_f16 v95, v1, s7, v94
	v_pk_fma_f16 v50, v1, s25, v49 op_sel_hi:[0,1,1]
	v_add3_u32 v42, 0, v8, v0
	v_add_f16_e32 v95, v95, v71
	v_pk_add_f16 v71, v50, v45
	v_add_f16_e32 v64, v5, v74
	s_waitcnt lgkmcnt(0)
	s_barrier
	v_add3_u32 v5, 0, v0, v8
	ds_read_u16 v55, v42 offset:510
	ds_read_u16 v48, v5
	ds_read_u16 v47, v42 offset:34
	ds_read_u16 v46, v42 offset:68
	;; [unrolled: 1-line block ×19, first 2 shown]
	v_add_u32_e32 v37, 17, v4
	v_alignbit_b32 v70, v95, v90, 16
	v_alignbit_b32 v69, v90, v77, 16
	v_pack_b32_f16 v68, v73, v77
	v_pack_b32_f16 v64, v64, v65
	v_alignbit_b32 v65, v63, v63, 16
	s_waitcnt lgkmcnt(0)
	s_barrier
	ds_write_b128 v2, v[68:71]
	ds_write_b128 v2, v[64:67] offset:16
	ds_write_b16 v2, v76 offset:32
	s_and_saveexec_b64 s[2:3], s[0:1]
	s_cbranch_execz .LBB0_16
; %bb.15:
	v_add_f16_e32 v2, v3, v39
	v_add_f16_e32 v2, v2, v35
	;; [unrolled: 1-line block ×14, first 2 shown]
	v_sub_f16_e32 v22, v22, v38
	v_add_f16_e32 v2, v40, v2
	v_add_f16_e32 v39, v39, v41
	s_mov_b32 s0, 0xbbdd
	v_mul_f16_e32 v65, 0xb1e1, v22
	v_sub_f16_e32 v18, v18, v34
	v_add_f16_e32 v2, v41, v2
	s_mov_b32 s1, 0xb461
	v_mul_f16_e32 v41, 0xbbb2, v22
	v_fma_f16 v66, v39, s0, v65
	v_add_f16_e32 v35, v35, v40
	s_movk_i32 s7, 0x3b76
	v_mul_f16_e32 v68, 0x35c8, v18
	v_sub_f16_e32 v17, v17, v29
	v_fma_f16 v63, v39, s1, v41
	v_add_f16_e32 v66, v3, v66
	s_mov_b32 s6, 0xbacd
	v_mul_f16_e32 v40, 0x3836, v18
	v_fma_f16 v69, v35, s7, v68
	v_add_f16_e32 v33, v33, v36
	v_mul_f16_e32 v70, 0xb836, v17
	v_sub_f16_e32 v15, v15, v26
	v_add_f16_e32 v63, v3, v63
	v_fma_f16 v67, v35, s6, v40
	v_add_f16_e32 v66, v66, v69
	s_movk_i32 s13, 0x39e9
	v_mul_f16_e32 v36, 0x3964, v17
	v_fma_f16 v71, v33, s6, v70
	v_add_f16_e32 v31, v31, v32
	v_mul_f16_e32 v72, 0x3964, v15
	v_sub_f16_e32 v14, v14, v21
	v_add_f16_e32 v63, v63, v67
	v_fma_f16 v69, v33, s13, v36
	v_add_f16_e32 v66, v66, v71
	s_movk_i32 s14, 0x3722
	v_mul_f16_e32 v32, 0xbb29, v15
	v_fma_f16 v73, v31, s13, v72
	v_add_f16_e32 v28, v28, v30
	s_mov_b32 s16, 0xb8d2
	v_mul_f16_e32 v74, 0xba62, v14
	v_sub_f16_e32 v16, v12, v16
	v_add_f16_e32 v63, v63, v69
	v_fma_f16 v71, v31, s14, v32
	v_add_f16_e32 v66, v66, v73
	v_mul_f16_e32 v30, 0xb1e1, v14
	v_fma_f16 v75, v28, s16, v74
	v_add_f16_e32 v25, v25, v27
	v_mul_f16_e32 v76, 0x3b29, v16
	v_add_f16_e32 v63, v63, v71
	v_fma_f16 v73, v28, s0, v30
	v_add_f16_e32 v66, v66, v75
	s_movk_i32 s0, 0x2de8
	v_mul_f16_e32 v27, 0x3bf7, v16
	v_fma_f16 v77, v25, s14, v76
	v_sub_f16_e32 v11, v11, v13
	v_add_f16_e32 v63, v63, v73
	v_fma_f16 v75, v25, s0, v27
	v_add_f16_e32 v66, v66, v77
	v_add_f16_e32 v23, v23, v24
	v_mul_f16_e32 v77, 0xb5c8, v11
	v_add_f16_e32 v63, v63, v75
	v_fma_f16 v13, v23, s7, v77
	v_mul_f16_e32 v79, 0xbbb2, v11
	s_mov_b32 s18, 0xb964b5c8
	v_add_f16_e32 v63, v63, v13
	v_fma_f16 v13, v23, s1, v79
	v_sub_f16_e32 v9, v9, v10
	s_mov_b32 s17, 0x39e93b76
	v_pk_mul_f16 v10, v22, s18 op_sel_hi:[0,1]
	v_add_f16_e32 v66, v66, v13
	v_fma_f16 v13, v39, s7, -v10
	v_pk_fma_f16 v10, v39, s17, v10 op_sel_hi:[0,1,1]
	s_mov_b32 s17, 0xbbf7b964
	v_add_f16_e32 v19, v19, v20
	s_mov_b32 s7, 0x2de839e9
	v_pk_mul_f16 v20, v18, s17 op_sel_hi:[0,1]
	v_pk_add_f16 v10, v3, v10 op_sel_hi:[0,1]
	v_fma_f16 v80, v35, s13, -v20
	v_pk_fma_f16 v20, v35, s7, v20 op_sel_hi:[0,1,1]
	s_mov_b32 s13, 0xba62bb29
	v_add_f16_e32 v13, v3, v13
	v_pk_add_f16 v10, v10, v20
	s_mov_b32 s7, 0xb8d23722
	v_pk_mul_f16 v20, v17, s13 op_sel_hi:[0,1]
	v_add_f16_e32 v13, v13, v80
	v_fma_f16 v80, v33, s14, -v20
	v_pk_fma_f16 v20, v33, s7, v20 op_sel_hi:[0,1,1]
	s_mov_b32 s13, 0xb1e1bbf7
	v_pk_add_f16 v10, v10, v20
	s_mov_b32 s7, 0xbbdd2de8
	v_pk_mul_f16 v20, v15, s13 op_sel_hi:[0,1]
	v_add_f16_e32 v13, v13, v80
	v_fma_f16 v80, v31, s0, -v20
	v_pk_fma_f16 v20, v31, s7, v20 op_sel_hi:[0,1,1]
	s_mov_b32 s13, 0x3836bbb2
	;; [unrolled: 7-line block ×4, first 2 shown]
	v_pk_add_f16 v10, v10, v20
	v_pk_mul_f16 v20, v11, s7 op_sel_hi:[0,1]
	v_add_f16_e32 v13, v13, v80
	s_mov_b32 s1, 0x3722bacd
	v_fma_f16 v80, v23, s6, -v20
	s_mov_b32 s6, 0x35c8b1e1
	v_add_f16_e32 v13, v13, v80
	v_pk_fma_f16 v20, v23, s1, v20 op_sel_hi:[0,1,1]
	s_mov_b32 s1, 0x3b76bbdd
	v_pk_mul_f16 v80, v9, s6 op_sel_hi:[0,1]
	v_pk_add_f16 v10, v10, v20
	v_pk_mul_f16 v20, v19, s1 op_sel_hi:[0,1]
	v_pk_fma_f16 v81, v19, s1, v80 op_sel_hi:[0,1,1]
	s_mov_b32 s6, 0xbbf7bb29
	v_sub_f16_e32 v20, v20, v80
	v_pk_add_f16 v10, v10, v81
	s_mov_b32 s1, 0x2de83722
	v_pk_mul_f16 v81, v22, s6 op_sel_hi:[0,1]
	s_mov_b32 s6, 0xb1e1ba62
	v_add_f16_e32 v20, v13, v20
	v_pk_mul_f16 v80, v39, s1 op_sel_hi:[0,1]
	v_pk_fma_f16 v13, v39, s1, v81 op_sel_hi:[0,1,1]
	s_mov_b32 s1, 0xbbddb8d2
	v_pk_mul_f16 v83, v18, s6 op_sel_hi:[0,1]
	s_mov_b32 s6, 0x3bb231e1
	v_pk_add_f16 v13, v3, v13 op_sel_hi:[0,1]
	v_pk_mul_f16 v82, v35, s1 op_sel_hi:[0,1]
	v_pk_fma_f16 v84, v35, s1, v83 op_sel_hi:[0,1,1]
	s_mov_b32 s1, 0xb461bbdd
	v_pk_mul_f16 v85, v17, s6 op_sel_hi:[0,1]
	s_mov_b32 s6, 0x35c83bb2
	v_pk_add_f16 v13, v13, v84
	v_pk_mul_f16 v84, v33, s1 op_sel_hi:[0,1]
	v_pk_fma_f16 v86, v33, s1, v85 op_sel_hi:[0,1,1]
	s_mov_b32 s1, 0x3b76b461
	v_pk_mul_f16 v87, v15, s6 op_sel_hi:[0,1]
	s_mov_b32 s6, 0xbb293964
	v_pk_add_f16 v13, v13, v86
	;; [unrolled: 6-line block ×5, first 2 shown]
	v_pk_mul_f16 v92, v23, s1 op_sel_hi:[0,1]
	v_pk_fma_f16 v94, v23, s1, v93 op_sel_hi:[0,1,1]
	s_mov_b32 s1, 0x39e9bacd
	v_pk_mul_f16 v96, v9, s6 op_sel_hi:[0,1]
	v_pk_add_f16 v94, v13, v94
	v_pk_mul_f16 v95, v19, s1 op_sel_hi:[0,1]
	v_pk_fma_f16 v97, v19, s1, v96 op_sel_hi:[0,1,1]
	s_mov_b32 s1, 0x39e93722
	v_pk_mul_f16 v13, v22, s8 op_sel_hi:[0,1]
	v_pk_fma_f16 v13, v39, s1, v13 op_sel_hi:[0,1,1]
	s_mov_b32 s1, 0x2de8b8d2
	v_pk_mul_f16 v98, v18, s9 op_sel_hi:[0,1]
	v_pk_add_f16 v13, v3, v13 op_sel_hi:[0,1]
	v_pk_fma_f16 v98, v35, s1, v98 op_sel_hi:[0,1,1]
	v_pk_add_f16 v13, v13, v98
	s_mov_b32 s1, 0xb8d2bbdd
	v_pk_mul_f16 v98, v17, s10 op_sel_hi:[0,1]
	v_pk_fma_f16 v98, v33, s1, v98 op_sel_hi:[0,1,1]
	v_pk_add_f16 v13, v13, v98
	s_mov_b32 s1, 0xbbddb461
	v_pk_mul_f16 v98, v15, s11 op_sel_hi:[0,1]
	;; [unrolled: 4-line block ×6, first 2 shown]
	v_mul_f16_e32 v38, 0xb461, v39
	v_pk_fma_f16 v98, v19, s1, v98 op_sel_hi:[0,1,1]
	s_mov_b32 s1, 0xffff
	v_mul_f16_e32 v34, 0xbacd, v35
	v_bfi_b32 v38, s1, v38, v80
	v_bfi_b32 v41, s1, v41, v81
	v_mul_f16_e32 v29, 0x39e9, v33
	v_pk_add_f16 v38, v38, v41 neg_lo:[0,1] neg_hi:[0,1]
	v_bfi_b32 v34, s1, v34, v82
	v_bfi_b32 v40, s1, v40, v83
	v_mul_f16_e32 v26, 0x3722, v31
	v_pk_add_f16 v38, v3, v38 op_sel_hi:[0,1]
	v_pk_add_f16 v34, v34, v40 neg_lo:[0,1] neg_hi:[0,1]
	v_bfi_b32 v29, s1, v29, v84
	v_bfi_b32 v36, s1, v36, v85
	v_pk_add_f16 v34, v38, v34
	v_pk_add_f16 v29, v29, v36 neg_lo:[0,1] neg_hi:[0,1]
	v_bfi_b32 v26, s1, v26, v86
	v_bfi_b32 v32, s1, v32, v87
	v_mul_f16_e32 v21, 0xbbdd, v28
	v_pk_add_f16 v29, v34, v29
	v_pk_add_f16 v26, v26, v32 neg_lo:[0,1] neg_hi:[0,1]
	v_bfi_b32 v21, s1, v21, v88
	v_pk_add_f16 v26, v29, v26
	v_bfi_b32 v29, s1, v30, v89
	v_mul_f16_e32 v12, 0x2de8, v25
	v_pk_add_f16 v21, v21, v29 neg_lo:[0,1] neg_hi:[0,1]
	v_bfi_b32 v12, s1, v12, v90
	v_pk_add_f16 v21, v26, v21
	v_bfi_b32 v26, s1, v27, v91
	v_mul_f16_e32 v24, 0x3b76, v23
	v_pk_add_f16 v12, v12, v26 neg_lo:[0,1] neg_hi:[0,1]
	v_pk_add_f16 v13, v13, v98
	v_pk_add_f16 v12, v21, v12
	v_bfi_b32 v21, s1, v24, v92
	v_bfi_b32 v24, s1, v77, v93
	v_pk_add_f16 v94, v94, v97
	v_mul_f16_e32 v97, 0xb8d2, v19
	v_mul_f16_e32 v98, 0xba62, v9
	v_pk_add_f16 v21, v21, v24 neg_lo:[0,1] neg_hi:[0,1]
	v_bfi_b32 v24, s1, v98, v96
	v_pk_add_f16 v12, v12, v21
	v_bfi_b32 v21, s1, v97, v95
	s_mov_b32 s7, 0xb836ba62
	v_pk_add_f16 v21, v21, v24 neg_lo:[0,1] neg_hi:[0,1]
	s_mov_b32 s6, 0xbacdb8d2
	v_pk_mul_f16 v22, v22, s7 op_sel_hi:[0,1]
	v_pk_add_f16 v12, v12, v21
	v_pk_mul_f16 v21, v39, s6 op_sel_hi:[0,1]
	v_pk_fma_f16 v26, v39, s6, v22 op_sel_hi:[0,1,1]
	s_mov_b32 s6, 0x3722b461
	s_mov_b32 s7, 0x3b293bb2
	v_mul_f16_e32 v64, 0xbbdd, v39
	v_sub_f16_e32 v24, v21, v22
	v_pk_mul_f16 v27, v35, s6 op_sel_hi:[0,1]
	v_pk_mul_f16 v18, v18, s7 op_sel_hi:[0,1]
	v_add_f16_e32 v24, v3, v24
	v_sub_f16_e32 v29, v27, v18
	v_bfi_b32 v21, s1, v64, v21
	v_bfi_b32 v22, s1, v65, v22
	v_mul_f16_e32 v67, 0x3b76, v35
	v_pk_add_f16 v26, v3, v26 op_sel_hi:[0,1]
	v_add_f16_e32 v24, v24, v29
	v_pk_fma_f16 v29, v35, s6, v18 op_sel_hi:[0,1,1]
	s_mov_b32 s6, 0x2de83b76
	s_mov_b32 s7, 0xbbf7b5c8
	v_pk_add_f16 v21, v21, v22 neg_lo:[0,1] neg_hi:[0,1]
	v_pk_add_f16 v26, v26, v29
	v_pk_mul_f16 v29, v33, s6 op_sel_hi:[0,1]
	v_pk_mul_f16 v30, v17, s7 op_sel_hi:[0,1]
	v_pk_add_f16 v3, v3, v21 op_sel_hi:[0,1]
	v_bfi_b32 v21, s1, v67, v27
	v_bfi_b32 v18, s1, v68, v18
	v_mul_f16_e32 v69, 0xbacd, v33
	v_sub_f16_e32 v17, v29, v30
	v_pk_add_f16 v18, v21, v18 neg_lo:[0,1] neg_hi:[0,1]
	v_add_f16_e32 v17, v24, v17
	v_pk_fma_f16 v24, v33, s6, v30 op_sel_hi:[0,1,1]
	s_mov_b32 s6, 0xb8d2bacd
	s_mov_b32 s7, 0x3a62b836
	v_pk_add_f16 v3, v3, v18
	v_bfi_b32 v18, s1, v69, v29
	v_bfi_b32 v21, s1, v70, v30
	v_mul_f16_e32 v71, 0x39e9, v31
	v_pk_add_f16 v24, v26, v24
	v_pk_mul_f16 v26, v31, s6 op_sel_hi:[0,1]
	v_pk_mul_f16 v15, v15, s7 op_sel_hi:[0,1]
	s_mov_b32 s7, 0xb5c83bf7
	v_pk_add_f16 v18, v18, v21 neg_lo:[0,1] neg_hi:[0,1]
	v_sub_f16_e32 v32, v26, v15
	v_pk_fma_f16 v31, v31, s6, v15 op_sel_hi:[0,1,1]
	s_mov_b32 s6, 0x3b762de8
	v_pk_mul_f16 v14, v14, s7 op_sel_hi:[0,1]
	s_mov_b32 s7, 0xb1e1b964
	v_pk_add_f16 v3, v3, v18
	v_bfi_b32 v18, s1, v71, v26
	v_bfi_b32 v15, s1, v72, v15
	v_mul_f16_e32 v73, 0xb8d2, v28
	v_pk_add_f16 v24, v24, v31
	v_pk_mul_f16 v31, v28, s6 op_sel_hi:[0,1]
	v_pk_fma_f16 v28, v28, s6, v14 op_sel_hi:[0,1,1]
	s_mov_b32 s6, 0xbbdd39e9
	v_pk_mul_f16 v16, v16, s7 op_sel_hi:[0,1]
	v_pk_add_f16 v15, v18, v15 neg_lo:[0,1] neg_hi:[0,1]
	v_mul_f16_e32 v75, 0x3722, v25
	v_add_f16_e32 v17, v17, v32
	v_sub_f16_e32 v32, v31, v14
	v_pk_add_f16 v24, v24, v28
	v_pk_mul_f16 v28, v25, s6 op_sel_hi:[0,1]
	v_pk_fma_f16 v25, v25, s6, v16 op_sel_hi:[0,1,1]
	s_mov_b32 s6, 0x39e9bbdd
	s_mov_b32 s7, 0x3964b1e1
	v_pk_add_f16 v3, v3, v15
	v_bfi_b32 v15, s1, v73, v31
	v_bfi_b32 v14, s1, v74, v14
	v_add_f16_e32 v17, v17, v32
	v_sub_f16_e32 v32, v28, v16
	v_pk_add_f16 v24, v24, v25
	v_pk_mul_f16 v25, v23, s6 op_sel_hi:[0,1]
	v_pk_mul_f16 v11, v11, s7 op_sel_hi:[0,1]
	v_pk_add_f16 v14, v15, v14 neg_lo:[0,1] neg_hi:[0,1]
	v_mul_f16_e32 v78, 0xb461, v23
	v_add_f16_e32 v17, v17, v32
	v_sub_f16_e32 v32, v25, v11
	v_pk_fma_f16 v23, v23, s6, v11 op_sel_hi:[0,1,1]
	s_mov_b32 s6, 0xb4613722
	s_mov_b32 s7, 0xbbb23b29
	v_pk_add_f16 v3, v3, v14
	v_bfi_b32 v14, s1, v75, v28
	v_bfi_b32 v15, s1, v76, v16
	v_add_f16_e32 v17, v17, v32
	v_pk_add_f16 v23, v24, v23
	v_pk_mul_f16 v24, v19, s6 op_sel_hi:[0,1]
	v_pk_mul_f16 v32, v9, s7 op_sel_hi:[0,1]
	v_pk_add_f16 v14, v14, v15 neg_lo:[0,1] neg_hi:[0,1]
	v_pk_fma_f16 v33, v19, s6, v32 op_sel_hi:[0,1,1]
	v_sub_f16_e32 v34, v24, v32
	v_pk_add_f16 v3, v3, v14
	v_bfi_b32 v14, s1, v78, v25
	v_bfi_b32 v11, s1, v79, v11
	v_add_f16_e32 v34, v17, v34
	v_pk_add_f16 v17, v23, v33
	v_mul_f16_e32 v23, 0x2de8, v19
	v_mul_f16_e32 v9, 0x3bf7, v9
	v_pk_add_f16 v11, v14, v11 neg_lo:[0,1] neg_hi:[0,1]
	v_fma_f16 v99, v19, s16, v98
	v_fma_f16 v19, v19, s0, v9
	v_pk_add_f16 v3, v3, v11
	v_bfi_b32 v11, s1, v23, v24
	v_bfi_b32 v9, s1, v9, v32
	v_pk_add_f16 v9, v11, v9 neg_lo:[0,1] neg_hi:[0,1]
	v_add_f16_e32 v63, v63, v99
	v_add_f16_e32 v19, v66, v19
	v_pk_add_f16 v3, v3, v9
	v_mul_u32_u24_e32 v9, 34, v37
	v_add3_u32 v9, 0, v9, v0
	v_alignbit_b32 v16, v63, v94, 16
	v_alignbit_b32 v15, v94, v10, 16
	v_pack_b32_f16 v14, v2, v10
	v_alignbit_b32 v11, v34, v3, 16
	v_pack_b32_f16 v10, v19, v3
	ds_write_b128 v9, v[14:17]
	ds_write_b128 v9, v[10:13] offset:16
	ds_write_b16 v9, v20 offset:32
.LBB0_16:
	s_or_b64 exec, exec, s[2:3]
	v_add_u32_e32 v12, 34, v4
	s_movk_i32 s0, 0xf1
	v_mul_lo_u16_sdwa v10, v12, s0 dst_sel:DWORD dst_unused:UNUSED_PAD src0_sel:BYTE_0 src1_sel:DWORD
	v_lshrrev_b16_e32 v10, 12, v10
	v_add_u16_e32 v14, 51, v4
	v_mov_b32_e32 v9, 0
	v_mul_lo_u16_e32 v10, 17, v10
	v_mul_lo_u16_sdwa v15, v14, s0 dst_sel:DWORD dst_unused:UNUSED_PAD src0_sel:BYTE_0 src1_sel:DWORD
	v_lshl_add_u64 v[2:3], v[8:9], 2, s[4:5]
	v_mov_b32_e32 v8, 3
	v_sub_u16_e32 v13, v12, v10
	v_lshrrev_b16_e32 v15, 12, v15
	s_waitcnt lgkmcnt(0)
	s_barrier
	global_load_dwordx2 v[2:3], v[2:3], off
	v_lshlrev_b32_sdwa v10, v8, v13 dst_sel:DWORD dst_unused:UNUSED_PAD src0_sel:DWORD src1_sel:BYTE_0
	v_mul_lo_u16_e32 v15, 17, v15
	v_add_u16_e32 v16, 0x44, v4
	global_load_dwordx2 v[10:11], v10, s[4:5]
	v_sub_u16_e32 v22, v14, v15
	v_mul_lo_u16_sdwa v17, v16, s0 dst_sel:DWORD dst_unused:UNUSED_PAD src0_sel:BYTE_0 src1_sel:DWORD
	v_lshlrev_b32_sdwa v14, v8, v22 dst_sel:DWORD dst_unused:UNUSED_PAD src0_sel:DWORD src1_sel:BYTE_0
	global_load_dwordx2 v[14:15], v14, s[4:5]
	v_lshrrev_b16_e32 v17, 12, v17
	v_mul_lo_u16_e32 v17, 17, v17
	v_add_u16_e32 v18, 0x55, v4
	v_sub_u16_e32 v23, v16, v17
	v_mul_lo_u16_sdwa v19, v18, s0 dst_sel:DWORD dst_unused:UNUSED_PAD src0_sel:BYTE_0 src1_sel:DWORD
	v_lshlrev_b32_sdwa v16, v8, v23 dst_sel:DWORD dst_unused:UNUSED_PAD src0_sel:DWORD src1_sel:BYTE_0
	global_load_dwordx2 v[16:17], v16, s[4:5]
	v_lshrrev_b16_e32 v19, 12, v19
	v_mul_lo_u16_e32 v19, 17, v19
	v_add_u16_e32 v20, 0x66, v4
	v_sub_u16_e32 v24, v18, v19
	v_mul_lo_u16_sdwa v21, v20, s0 dst_sel:DWORD dst_unused:UNUSED_PAD src0_sel:BYTE_0 src1_sel:DWORD
	v_lshlrev_b32_sdwa v18, v8, v24 dst_sel:DWORD dst_unused:UNUSED_PAD src0_sel:DWORD src1_sel:BYTE_0
	v_lshrrev_b16_e32 v21, 12, v21
	global_load_dwordx2 v[18:19], v18, s[4:5]
	v_mul_lo_u16_e32 v21, 17, v21
	v_sub_u16_e32 v25, v20, v21
	v_lshlrev_b32_sdwa v8, v8, v25 dst_sel:DWORD dst_unused:UNUSED_PAD src0_sel:DWORD src1_sel:BYTE_0
	global_load_dwordx2 v[20:21], v8, s[4:5]
	ds_read_u16 v8, v42 offset:510
	ds_read_u16 v26, v5
	ds_read_u16 v27, v42 offset:34
	ds_read_u16 v28, v42 offset:68
	;; [unrolled: 1-line block ×19, first 2 shown]
	s_movk_i32 s0, 0x3aee
	s_mov_b32 s1, 0xbaee
	v_mov_b32_e32 v68, 1
	v_lshlrev_b32_sdwa v13, v68, v13 dst_sel:DWORD dst_unused:UNUSED_PAD src0_sel:DWORD src1_sel:BYTE_0
	v_lshlrev_b32_sdwa v22, v68, v22 dst_sel:DWORD dst_unused:UNUSED_PAD src0_sel:DWORD src1_sel:BYTE_0
	s_waitcnt lgkmcnt(0)
	s_barrier
	v_lshlrev_b32_sdwa v23, v68, v23 dst_sel:DWORD dst_unused:UNUSED_PAD src0_sel:DWORD src1_sel:BYTE_0
	v_lshlrev_b32_sdwa v24, v68, v24 dst_sel:DWORD dst_unused:UNUSED_PAD src0_sel:DWORD src1_sel:BYTE_0
	;; [unrolled: 1-line block ×3, first 2 shown]
	s_waitcnt vmcnt(5)
	v_mul_f16_sdwa v69, v38, v2 dst_sel:DWORD dst_unused:UNUSED_PAD src0_sel:DWORD src1_sel:WORD_1
	v_mul_f16_sdwa v70, v61, v2 dst_sel:DWORD dst_unused:UNUSED_PAD src0_sel:DWORD src1_sel:WORD_1
	;; [unrolled: 1-line block ×8, first 2 shown]
	v_fma_f16 v61, v61, v2, -v69
	v_fma_f16 v38, v38, v2, v70
	v_fma_f16 v62, v62, v3, -v71
	v_fma_f16 v40, v40, v3, v72
	;; [unrolled: 2-line block ×4, first 2 shown]
	s_waitcnt vmcnt(4)
	v_mul_f16_sdwa v8, v33, v10 dst_sel:DWORD dst_unused:UNUSED_PAD src0_sel:DWORD src1_sel:WORD_1
	v_mul_f16_sdwa v55, v58, v10 dst_sel:DWORD dst_unused:UNUSED_PAD src0_sel:DWORD src1_sel:WORD_1
	;; [unrolled: 1-line block ×3, first 2 shown]
	v_fma_f16 v8, v58, v10, -v8
	v_fma_f16 v10, v33, v10, v55
	v_mul_f16_sdwa v55, v60, v11 dst_sel:DWORD dst_unused:UNUSED_PAD src0_sel:DWORD src1_sel:WORD_1
	v_fma_f16 v33, v60, v11, -v69
	v_fma_f16 v11, v63, v11, v55
	s_waitcnt vmcnt(3)
	v_mul_f16_sdwa v55, v34, v14 dst_sel:DWORD dst_unused:UNUSED_PAD src0_sel:DWORD src1_sel:WORD_1
	v_fma_f16 v55, v56, v14, -v55
	v_mul_f16_sdwa v56, v56, v14 dst_sel:DWORD dst_unused:UNUSED_PAD src0_sel:DWORD src1_sel:WORD_1
	v_fma_f16 v14, v34, v14, v56
	v_mul_f16_sdwa v34, v64, v15 dst_sel:DWORD dst_unused:UNUSED_PAD src0_sel:DWORD src1_sel:WORD_1
	v_mul_f16_sdwa v56, v57, v15 dst_sel:DWORD dst_unused:UNUSED_PAD src0_sel:DWORD src1_sel:WORD_1
	v_fma_f16 v34, v57, v15, -v34
	v_fma_f16 v15, v64, v15, v56
	s_waitcnt vmcnt(2)
	v_mul_f16_sdwa v56, v35, v16 dst_sel:DWORD dst_unused:UNUSED_PAD src0_sel:DWORD src1_sel:WORD_1
	v_fma_f16 v56, v53, v16, -v56
	v_mul_f16_sdwa v53, v53, v16 dst_sel:DWORD dst_unused:UNUSED_PAD src0_sel:DWORD src1_sel:WORD_1
	v_fma_f16 v16, v35, v16, v53
	v_mul_f16_sdwa v35, v65, v17 dst_sel:DWORD dst_unused:UNUSED_PAD src0_sel:DWORD src1_sel:WORD_1
	;; [unrolled: 9-line block ×4, first 2 shown]
	v_fma_f16 v41, v50, v21, -v41
	v_mul_f16_sdwa v49, v50, v21 dst_sel:DWORD dst_unused:UNUSED_PAD src0_sel:DWORD src1_sel:WORD_1
	v_add_f16_e32 v50, v61, v62
	v_fma_f16 v21, v67, v21, v49
	v_add_f16_e32 v49, v48, v61
	v_fma_f16 v48, v50, -0.5, v48
	v_sub_f16_e32 v50, v38, v40
	v_fma_f16 v52, v50, s0, v48
	v_fma_f16 v48, v50, s1, v48
	v_add_f16_e32 v50, v26, v38
	v_add_f16_e32 v38, v38, v40
	v_fma_f16 v26, v38, -0.5, v26
	v_sub_f16_e32 v38, v61, v62
	v_add_f16_e32 v54, v59, v32
	v_add_f16_e32 v50, v50, v40
	v_fma_f16 v40, v38, s1, v26
	v_fma_f16 v38, v38, s0, v26
	v_add_f16_e32 v26, v47, v59
	v_fma_f16 v47, v54, -0.5, v47
	v_sub_f16_e32 v54, v2, v3
	v_fma_f16 v57, v54, s0, v47
	v_fma_f16 v47, v54, s1, v47
	v_add_f16_e32 v54, v27, v2
	v_add_f16_e32 v2, v2, v3
	v_fma_f16 v2, v2, -0.5, v27
	v_add_f16_e32 v27, v8, v33
	v_add_f16_e32 v26, v26, v32
	;; [unrolled: 1-line block ×3, first 2 shown]
	v_sub_f16_e32 v3, v59, v32
	v_fma_f16 v27, v27, -0.5, v46
	v_sub_f16_e32 v32, v10, v11
	v_fma_f16 v58, v3, s1, v2
	v_fma_f16 v2, v3, s0, v2
	v_add_f16_e32 v3, v46, v8
	v_fma_f16 v46, v32, s0, v27
	v_fma_f16 v27, v32, s1, v27
	v_add_f16_e32 v32, v28, v10
	v_add_f16_e32 v10, v10, v11
	v_fma_f16 v10, v10, -0.5, v28
	v_add_f16_e32 v28, v55, v34
	v_add_f16_e32 v59, v32, v11
	v_fma_f16 v28, v28, -0.5, v45
	v_sub_f16_e32 v32, v14, v15
	v_add_f16_e32 v3, v3, v33
	v_sub_f16_e32 v8, v8, v33
	v_fma_f16 v33, v32, s0, v28
	v_fma_f16 v28, v32, s1, v28
	v_add_f16_e32 v32, v29, v14
	v_add_f16_e32 v14, v14, v15
	v_fma_f16 v11, v8, s1, v10
	v_fma_f16 v8, v8, s0, v10
	v_add_f16_e32 v10, v45, v55
	v_add_f16_e32 v45, v32, v15
	v_fma_f16 v14, v14, -0.5, v29
	v_sub_f16_e32 v15, v55, v34
	v_add_f16_e32 v10, v10, v34
	v_fma_f16 v34, v15, s1, v14
	v_fma_f16 v55, v15, s0, v14
	v_add_f16_e32 v15, v56, v35
	v_fma_f16 v15, v15, -0.5, v44
	v_sub_f16_e32 v29, v16, v17
	v_fma_f16 v32, v29, s0, v15
	v_fma_f16 v15, v29, s1, v15
	v_add_f16_e32 v29, v30, v16
	v_add_f16_e32 v16, v16, v17
	;; [unrolled: 1-line block ×4, first 2 shown]
	v_fma_f16 v16, v16, -0.5, v30
	v_sub_f16_e32 v17, v56, v35
	v_add_f16_e32 v14, v14, v35
	v_fma_f16 v35, v17, s1, v16
	v_fma_f16 v56, v17, s0, v16
	v_add_f16_e32 v17, v53, v36
	v_fma_f16 v17, v17, -0.5, v43
	v_sub_f16_e32 v29, v18, v19
	v_fma_f16 v30, v29, s0, v17
	v_fma_f16 v17, v29, s1, v17
	v_add_f16_e32 v29, v31, v18
	v_add_f16_e32 v18, v18, v19
	;; [unrolled: 1-line block ×4, first 2 shown]
	v_fma_f16 v18, v18, -0.5, v31
	v_sub_f16_e32 v19, v53, v36
	v_add_f16_e32 v16, v16, v36
	v_fma_f16 v36, v19, s1, v18
	v_fma_f16 v53, v19, s0, v18
	v_add_f16_e32 v19, v51, v41
	v_add_f16_e32 v49, v49, v62
	v_add_f16_e32 v18, v1, v51
	v_fma_f16 v1, v19, -0.5, v1
	v_sub_f16_e32 v19, v20, v21
	v_fma_f16 v29, v19, s0, v1
	v_fma_f16 v1, v19, s1, v1
	v_add_f16_e32 v19, v39, v20
	ds_write_b16 v42, v49
	ds_write_b16 v42, v52 offset:34
	ds_write_b16 v42, v48 offset:68
	;; [unrolled: 1-line block ×5, first 2 shown]
	v_add3_u32 v47, 0, v13, v0
	v_add_f16_e32 v60, v19, v21
	v_add_f16_e32 v19, v20, v21
	ds_write_b16 v47, v3 offset:204
	ds_write_b16 v47, v46 offset:238
	;; [unrolled: 1-line block ×3, first 2 shown]
	v_add3_u32 v3, 0, v22, v0
	v_add_f16_e32 v18, v18, v41
	v_fma_f16 v19, v19, -0.5, v39
	v_sub_f16_e32 v20, v51, v41
	ds_write_b16 v3, v10 offset:306
	ds_write_b16 v3, v33 offset:340
	;; [unrolled: 1-line block ×3, first 2 shown]
	v_add3_u32 v10, 0, v23, v0
	v_add3_u32 v46, 0, v24, v0
	;; [unrolled: 1-line block ×3, first 2 shown]
	v_fma_f16 v39, v20, s1, v19
	v_fma_f16 v41, v20, s0, v19
	ds_write_b16 v10, v14 offset:408
	ds_write_b16 v10, v32 offset:442
	;; [unrolled: 1-line block ×9, first 2 shown]
	s_waitcnt lgkmcnt(0)
	s_barrier
	ds_read_u16 v13, v5
	ds_read_u16 v20, v42 offset:34
	ds_read_u16 v23, v42 offset:136
	;; [unrolled: 1-line block ×20, first 2 shown]
	s_waitcnt lgkmcnt(0)
	s_barrier
	ds_write_b16 v42, v50
	ds_write_b16 v42, v40 offset:34
	ds_write_b16 v42, v38 offset:68
	;; [unrolled: 1-line block ×20, first 2 shown]
	s_waitcnt lgkmcnt(0)
	s_barrier
	s_and_saveexec_b64 s[0:1], vcc
	s_cbranch_execz .LBB0_18
; %bb.17:
	v_mul_u32_u24_e32 v0, 6, v12
	v_lshlrev_b32_e32 v8, 2, v0
	global_load_dwordx4 v[0:3], v8, s[4:5] offset:136
	global_load_dwordx2 v[10:11], v8, s[4:5] offset:152
	v_mov_b32_e32 v8, 0xffffff9a
	v_mad_u32_u24 v8, v12, 6, v8
	v_lshl_add_u64 v[34:35], v[8:9], 2, s[4:5]
	ds_read_u16 v36, v42 offset:272
	ds_read_u16 v43, v42 offset:68
	;; [unrolled: 1-line block ×19, first 2 shown]
	global_load_dwordx4 v[38:41], v[34:35], off offset:136
	global_load_dwordx2 v[44:45], v[34:35], off offset:152
	s_movk_i32 s1, 0x3574
	s_movk_i32 s6, 0x3b00
	s_mov_b32 s7, 0xb574
	s_movk_i32 s0, 0x370e
	s_mov_b32 s3, 0xbcab
	s_movk_i32 s8, 0x39e0
	s_movk_i32 s2, 0x3a52
	s_mov_b32 s9, 0xb9e0
	ds_read_u16 v42, v42 offset:34
	ds_read_u16 v5, v5
	s_waitcnt vmcnt(3) lgkmcnt(11)
	v_mul_f16_sdwa v8, v53, v0 dst_sel:DWORD dst_unused:UNUSED_PAD src0_sel:DWORD src1_sel:WORD_1
	s_waitcnt vmcnt(2)
	v_mul_f16_sdwa v34, v46, v11 dst_sel:DWORD dst_unused:UNUSED_PAD src0_sel:DWORD src1_sel:WORD_1
	s_waitcnt lgkmcnt(7)
	v_mul_f16_sdwa v35, v57, v3 dst_sel:DWORD dst_unused:UNUSED_PAD src0_sel:DWORD src1_sel:WORD_1
	s_waitcnt lgkmcnt(4)
	v_mul_f16_sdwa v63, v60, v2 dst_sel:DWORD dst_unused:UNUSED_PAD src0_sel:DWORD src1_sel:WORD_1
	v_mul_f16_sdwa v64, v36, v1 dst_sel:DWORD dst_unused:UNUSED_PAD src0_sel:DWORD src1_sel:WORD_1
	;; [unrolled: 1-line block ×9, first 2 shown]
	v_fma_f16 v8, v28, v0, -v8
	v_fma_f16 v28, v33, v11, -v34
	;; [unrolled: 1-line block ×6, first 2 shown]
	v_fma_f16 v11, v11, v46, v66
	v_fma_f16 v0, v0, v53, v67
	;; [unrolled: 1-line block ×6, first 2 shown]
	v_add_f16_e32 v36, v0, v11
	v_add_f16_e32 v46, v3, v2
	;; [unrolled: 1-line block ×3, first 2 shown]
	v_sub_f16_e32 v0, v0, v11
	v_sub_f16_e32 v2, v3, v2
	;; [unrolled: 1-line block ×5, first 2 shown]
	v_add_f16_e32 v8, v8, v28
	v_add_f16_e32 v28, v29, v30
	;; [unrolled: 1-line block ×3, first 2 shown]
	v_sub_f16_e32 v3, v0, v2
	v_sub_f16_e32 v10, v2, v1
	v_add_f16_e32 v2, v2, v1
	v_sub_f16_e32 v35, v31, v32
	v_add_f16_e32 v64, v8, v29
	v_add_f16_e32 v2, v0, v2
	v_sub_f16_e32 v0, v1, v0
	v_add_f16_e32 v32, v34, v35
	v_sub_f16_e32 v60, v8, v28
	v_sub_f16_e32 v63, v28, v29
	v_add_f16_e32 v28, v28, v64
	v_mul_f16_e32 v10, 0xb846, v10
	v_mul_f16_e32 v1, 0x3b00, v0
	v_sub_f16_e32 v30, v33, v34
	v_sub_f16_e32 v31, v34, v35
	v_add_f16_e32 v57, v36, v49
	v_add_f16_e32 v32, v33, v32
	v_mul_f16_e32 v63, 0x2b26, v63
	v_add_f16_e32 v27, v27, v28
	v_fma_f16 v11, v3, s1, v10
	v_sub_f16_e32 v33, v35, v33
	v_sub_f16_e32 v8, v29, v8
	v_fma_f16 v1, v3, s7, -v1
	v_fma_f16 v0, v0, s6, -v10
	v_sub_f16_e32 v34, v36, v46
	v_sub_f16_e32 v53, v46, v49
	v_mul_f16_e32 v31, 0xb846, v31
	v_add_f16_e32 v46, v46, v57
	v_mul_f16_e32 v57, 0x3a52, v60
	v_fma_f16 v28, v28, s3, v27
	v_fma_f16 v11, v2, s0, v11
	v_mul_f16_e32 v35, 0x3b00, v33
	v_fma_f16 v1, v2, s0, v1
	v_fma_f16 v0, v2, s0, v0
	v_fma_f16 v2, v8, s8, -v63
	v_mul_f16_e32 v65, 0x3a52, v34
	v_fma_f16 v64, v30, s1, v31
	v_add_f16_e32 v43, v43, v46
	v_fma_f16 v60, v60, s2, v63
	v_fma_f16 v30, v30, s7, -v35
	v_sub_f16_e32 v35, v49, v36
	v_fma_f16 v29, v8, s9, -v57
	v_add_f16_e32 v2, v2, v28
	v_mul_f16_e32 v53, 0x2b26, v53
	v_fma_f16 v46, v46, s3, v43
	v_add_f16_e32 v60, v60, v28
	v_fma_f16 v36, v35, s9, -v65
	v_add_f16_e32 v29, v29, v28
	v_fma_f16 v31, v33, s6, -v31
	v_add_f16_e32 v28, v0, v2
	v_sub_f16_e32 v33, v2, v0
	s_waitcnt vmcnt(1)
	v_mul_f16_sdwa v0, v54, v38 dst_sel:DWORD dst_unused:UNUSED_PAD src0_sel:DWORD src1_sel:WORD_1
	v_fma_f16 v34, v34, s2, v53
	v_fma_f16 v30, v32, s0, v30
	v_add_f16_e32 v36, v36, v46
	v_fma_f16 v8, v23, v38, -v0
	s_waitcnt vmcnt(0)
	v_mul_f16_sdwa v0, v47, v45 dst_sel:DWORD dst_unused:UNUSED_PAD src0_sel:DWORD src1_sel:WORD_1
	v_fma_f16 v64, v32, s0, v64
	v_add_f16_e32 v34, v34, v46
	v_add_f16_e32 v49, v30, v36
	v_sub_f16_e32 v57, v29, v1
	v_sub_f16_e32 v30, v36, v30
	v_add_f16_e32 v29, v1, v29
	v_fma_f16 v36, v26, v45, -v0
	v_mul_f16_sdwa v0, v58, v41 dst_sel:DWORD dst_unused:UNUSED_PAD src0_sel:DWORD src1_sel:WORD_1
	v_mul_f16_sdwa v1, v51, v39 dst_sel:DWORD dst_unused:UNUSED_PAD src0_sel:DWORD src1_sel:WORD_1
	v_add_f16_e32 v66, v64, v34
	v_fma_f16 v3, v35, s8, -v53
	v_sub_f16_e32 v34, v34, v64
	v_fma_f16 v53, v24, v41, -v0
	s_waitcnt lgkmcnt(3)
	v_mul_f16_sdwa v0, v61, v40 dst_sel:DWORD dst_unused:UNUSED_PAD src0_sel:DWORD src1_sel:WORD_1
	v_fma_f16 v64, v21, v39, -v1
	v_mul_f16_sdwa v1, v50, v44 dst_sel:DWORD dst_unused:UNUSED_PAD src0_sel:DWORD src1_sel:WORD_1
	v_sub_f16_e32 v67, v60, v11
	v_add_f16_e32 v35, v11, v60
	v_fma_f16 v60, v25, v40, -v0
	v_fma_f16 v65, v22, v44, -v1
	v_add_f16_e32 v3, v3, v46
	v_sub_f16_e32 v46, v8, v36
	v_sub_f16_e32 v0, v53, v60
	;; [unrolled: 1-line block ×5, first 2 shown]
	v_add_f16_e32 v0, v0, v68
	v_add_f16_e32 v70, v46, v0
	v_mul_f16_sdwa v0, v26, v45 dst_sel:DWORD dst_unused:UNUSED_PAD src0_sel:DWORD src1_sel:WORD_1
	v_fma_f16 v26, v45, v47, v0
	v_mul_f16_sdwa v0, v23, v38 dst_sel:DWORD dst_unused:UNUSED_PAD src0_sel:DWORD src1_sel:WORD_1
	v_mul_f16_e32 v69, 0xb846, v1
	v_fma_f16 v23, v38, v54, v0
	v_mul_u32_u24_e32 v0, 6, v4
	v_fma_f16 v31, v32, s0, v31
	v_fma_f16 v1, v63, s1, v69
	v_mul_f16_sdwa v10, v25, v40 dst_sel:DWORD dst_unused:UNUSED_PAD src0_sel:DWORD src1_sel:WORD_1
	v_lshlrev_b32_e32 v11, 2, v0
	v_sub_f16_e32 v32, v3, v31
	v_add_f16_e32 v31, v31, v3
	v_fma_f16 v71, v70, s0, v1
	global_load_dwordx4 v[0:3], v11, s[4:5] offset:136
	v_fma_f16 v25, v40, v61, v10
	global_load_dwordx2 v[10:11], v11, s[4:5] offset:152
	v_mul_f16_sdwa v22, v22, v44 dst_sel:DWORD dst_unused:UNUSED_PAD src0_sel:DWORD src1_sel:WORD_1
	v_mul_f16_sdwa v21, v21, v39 dst_sel:DWORD dst_unused:UNUSED_PAD src0_sel:DWORD src1_sel:WORD_1
	;; [unrolled: 1-line block ×3, first 2 shown]
	v_fma_f16 v22, v44, v50, v22
	v_fma_f16 v21, v39, v51, v21
	v_add_f16_e32 v38, v23, v26
	v_fma_f16 v24, v41, v58, v24
	v_add_f16_e32 v39, v21, v22
	v_add_f16_e32 v40, v24, v25
	;; [unrolled: 1-line block ×6, first 2 shown]
	v_sub_f16_e32 v41, v38, v40
	v_sub_f16_e32 v44, v40, v39
	v_add_f16_e32 v40, v40, v47
	v_add_f16_e32 v58, v8, v53
	v_sub_f16_e32 v24, v24, v25
	v_sub_f16_e32 v21, v21, v22
	v_mul_f16_e32 v45, 0x3a52, v41
	v_mul_f16_e32 v44, 0x2b26, v44
	s_waitcnt lgkmcnt(1)
	v_add_f16_e32 v42, v42, v40
	v_sub_f16_e32 v50, v8, v36
	v_sub_f16_e32 v54, v36, v53
	v_add_f16_e32 v36, v36, v58
	v_sub_f16_e32 v23, v23, v26
	v_sub_f16_e32 v22, v24, v21
	;; [unrolled: 1-line block ×4, first 2 shown]
	v_fma_f16 v41, v41, s2, v44
	v_fma_f16 v40, v40, s3, v42
	v_mul_f16_e32 v51, 0x3a52, v50
	v_mul_f16_e32 v54, 0x2b26, v54
	v_add_f16_e32 v20, v20, v36
	v_sub_f16_e32 v25, v23, v24
	v_mul_f16_e32 v22, 0xb846, v22
	v_add_f16_e32 v24, v24, v21
	v_mul_f16_e32 v60, 0x3b00, v46
	v_fma_f16 v39, v38, s9, -v45
	v_sub_f16_e32 v8, v53, v8
	v_sub_f16_e32 v21, v21, v23
	v_fma_f16 v38, v38, s8, -v44
	v_add_f16_e32 v41, v41, v40
	v_fma_f16 v36, v36, s3, v20
	v_add_f16_e32 v24, v23, v24
	v_fma_f16 v60, v63, s7, -v60
	v_add_f16_e32 v39, v39, v40
	v_fma_f16 v51, v8, s9, -v51
	v_mul_f16_e32 v23, 0x3b00, v21
	v_add_f16_e32 v38, v38, v40
	v_fma_f16 v40, v46, s6, -v69
	v_fma_f16 v21, v21, s6, -v22
	v_fma_f16 v8, v8, s8, -v54
	v_fma_f16 v50, v50, s2, v54
	v_fma_f16 v26, v25, s1, v22
	;; [unrolled: 1-line block ×3, first 2 shown]
	v_fma_f16 v23, v25, s7, -v23
	v_fma_f16 v40, v70, s0, v40
	v_fma_f16 v21, v24, s0, v21
	v_add_f16_e32 v8, v8, v36
	v_add_f16_e32 v47, v71, v41
	;; [unrolled: 1-line block ×3, first 2 shown]
	v_fma_f16 v26, v24, s0, v26
	v_add_f16_e32 v45, v60, v39
	v_add_f16_e32 v51, v51, v36
	v_fma_f16 v23, v24, s0, v23
	v_sub_f16_e32 v44, v38, v40
	v_add_f16_e32 v22, v21, v8
	v_add_f16_e32 v24, v40, v38
	v_sub_f16_e32 v21, v8, v21
	v_sub_f16_e32 v36, v39, v60
	;; [unrolled: 1-line block ×4, first 2 shown]
	v_add_f16_e32 v26, v26, v50
	v_sub_f16_e32 v25, v51, v23
	v_add_f16_e32 v23, v23, v51
	s_waitcnt vmcnt(1)
	v_mul_f16_sdwa v8, v55, v0 dst_sel:DWORD dst_unused:UNUSED_PAD src0_sel:DWORD src1_sel:WORD_1
	v_mul_f16_sdwa v41, v59, v3 dst_sel:DWORD dst_unused:UNUSED_PAD src0_sel:DWORD src1_sel:WORD_1
	s_waitcnt vmcnt(0)
	v_mul_f16_sdwa v39, v48, v11 dst_sel:DWORD dst_unused:UNUSED_PAD src0_sel:DWORD src1_sel:WORD_1
	v_mul_f16_sdwa v46, v62, v2 dst_sel:DWORD dst_unused:UNUSED_PAD src0_sel:DWORD src1_sel:WORD_1
	;; [unrolled: 1-line block ×4, first 2 shown]
	v_fma_f16 v8, v16, v0, -v8
	v_fma_f16 v39, v19, v11, -v39
	;; [unrolled: 1-line block ×6, first 2 shown]
	v_mul_f16_sdwa v19, v19, v11 dst_sel:DWORD dst_unused:UNUSED_PAD src0_sel:DWORD src1_sel:WORD_1
	v_mul_f16_sdwa v16, v16, v0 dst_sel:DWORD dst_unused:UNUSED_PAD src0_sel:DWORD src1_sel:WORD_1
	;; [unrolled: 1-line block ×6, first 2 shown]
	v_fma_f16 v11, v11, v48, v19
	v_fma_f16 v0, v0, v55, v16
	;; [unrolled: 1-line block ×6, first 2 shown]
	v_add_f16_e32 v16, v0, v11
	v_add_f16_e32 v17, v3, v2
	;; [unrolled: 1-line block ×3, first 2 shown]
	v_sub_f16_e32 v0, v0, v11
	v_sub_f16_e32 v2, v3, v2
	v_sub_f16_e32 v1, v1, v10
	v_sub_f16_e32 v40, v8, v39
	v_add_f16_e32 v48, v16, v14
	v_add_f16_e32 v8, v8, v39
	;; [unrolled: 1-line block ×3, first 2 shown]
	v_sub_f16_e32 v3, v0, v2
	v_sub_f16_e32 v10, v2, v1
	v_add_f16_e32 v2, v2, v1
	v_sub_f16_e32 v50, v41, v46
	v_sub_f16_e32 v60, v53, v54
	;; [unrolled: 1-line block ×4, first 2 shown]
	v_add_f16_e32 v17, v17, v48
	v_add_f16_e32 v39, v41, v46
	v_add_f16_e32 v54, v8, v52
	v_add_f16_e32 v2, v0, v2
	v_sub_f16_e32 v0, v1, v0
	v_sub_f16_e32 v51, v40, v50
	;; [unrolled: 1-line block ×3, first 2 shown]
	v_add_f16_e32 v50, v50, v60
	v_mul_f16_e32 v19, 0x3a52, v18
	v_mul_f16_e32 v15, 0x2b26, v15
	s_waitcnt lgkmcnt(0)
	v_add_f16_e32 v48, v5, v17
	v_sub_f16_e32 v41, v8, v39
	v_sub_f16_e32 v53, v39, v52
	v_add_f16_e32 v39, v39, v54
	v_mul_f16_e32 v10, 0xb846, v10
	v_sub_f16_e32 v14, v14, v16
	v_mul_f16_e32 v1, 0x3b00, v0
	v_mul_f16_e32 v61, 0xb846, v61
	v_add_f16_e32 v50, v40, v50
	v_fma_f16 v18, v18, s2, v15
	v_fma_f16 v5, v17, s3, v48
	v_mul_f16_e32 v53, 0x2b26, v53
	v_add_f16_e32 v13, v13, v39
	v_fma_f16 v11, v3, s1, v10
	v_sub_f16_e32 v40, v60, v40
	v_fma_f16 v16, v14, s9, -v19
	v_sub_f16_e32 v8, v52, v8
	v_fma_f16 v1, v3, s7, -v1
	v_fma_f16 v14, v14, s8, -v15
	v_fma_f16 v0, v0, s6, -v10
	v_add_f16_e32 v17, v18, v5
	v_mul_f16_e32 v46, 0x3a52, v41
	v_fma_f16 v39, v39, s3, v13
	v_fma_f16 v11, v2, s0, v11
	v_mul_f16_e32 v55, 0x3b00, v40
	v_add_f16_e32 v16, v16, v5
	v_fma_f16 v1, v2, s0, v1
	v_add_f16_e32 v5, v14, v5
	v_fma_f16 v14, v40, s6, -v61
	v_fma_f16 v0, v2, s0, v0
	v_fma_f16 v2, v8, s8, -v53
	v_fma_f16 v63, v51, s1, v61
	v_fma_f16 v51, v51, s7, -v55
	v_fma_f16 v46, v8, s9, -v46
	v_fma_f16 v14, v50, s0, v14
	v_add_f16_e32 v2, v2, v39
	v_fma_f16 v51, v50, s0, v51
	v_add_f16_e32 v46, v46, v39
	v_sub_f16_e32 v15, v5, v14
	v_add_f16_e32 v8, v0, v2
	v_add_f16_e32 v10, v14, v5
	v_sub_f16_e32 v2, v2, v0
	v_mov_b32_e32 v5, v9
	v_fma_f16 v41, v41, s2, v53
	v_add_f16_e32 v19, v51, v16
	v_sub_f16_e32 v3, v46, v1
	v_sub_f16_e32 v14, v16, v51
	v_add_f16_e32 v16, v1, v46
	v_lshl_add_u64 v[0:1], v[4:5], 2, v[6:7]
	v_pack_b32_f16 v2, v2, v10
	v_fma_f16 v63, v50, s0, v63
	v_add_f16_e32 v41, v41, v39
	global_store_dword v[0:1], v2, off offset:612
	v_pack_b32_f16 v2, v8, v15
	v_add_f16_e32 v18, v63, v17
	v_sub_f16_e32 v54, v41, v11
	global_store_dword v[0:1], v2, off offset:816
	v_pack_b32_f16 v2, v3, v19
	global_store_dword v[0:1], v2, off offset:1020
	v_pack_b32_f16 v2, v54, v18
	s_mov_b32 s0, 0xa0a0a0a1
	v_sub_f16_e32 v17, v17, v63
	v_add_f16_e32 v11, v11, v41
	v_pack_b32_f16 v4, v13, v48
	global_store_dword v[0:1], v2, off offset:1224
	v_mul_hi_u32 v2, v37, s0
	global_store_dword v[0:1], v4, off
	v_pack_b32_f16 v4, v11, v17
	v_lshrrev_b32_e32 v2, 5, v2
	global_store_dword v[0:1], v4, off offset:204
	v_pack_b32_f16 v4, v16, v14
	v_mul_u32_u24_e32 v8, 0x132, v2
	global_store_dword v[0:1], v4, off offset:408
	v_lshl_add_u64 v[2:3], v[8:9], 2, v[0:1]
	v_pack_b32_f16 v4, v20, v42
	global_store_dword v[2:3], v4, off offset:68
	v_pack_b32_f16 v4, v26, v38
	global_store_dword v[2:3], v4, off offset:272
	;; [unrolled: 2-line block ×7, first 2 shown]
	v_mul_hi_u32 v2, v12, s0
	v_lshrrev_b32_e32 v2, 5, v2
	v_mul_u32_u24_e32 v8, 0x132, v2
	v_lshl_add_u64 v[0:1], v[8:9], 2, v[0:1]
	v_pack_b32_f16 v2, v27, v43
	global_store_dword v[0:1], v2, off offset:136
	v_pack_b32_f16 v2, v35, v34
	global_store_dword v[0:1], v2, off offset:340
	;; [unrolled: 2-line block ×7, first 2 shown]
.LBB0_18:
	s_endpgm
	.section	.rodata,"a",@progbits
	.p2align	6, 0x0
	.amdhsa_kernel fft_rtc_fwd_len357_factors_17_3_7_wgs_187_tpt_17_halfLds_half_ip_CI_unitstride_sbrr_dirReg
		.amdhsa_group_segment_fixed_size 0
		.amdhsa_private_segment_fixed_size 0
		.amdhsa_kernarg_size 88
		.amdhsa_user_sgpr_count 2
		.amdhsa_user_sgpr_dispatch_ptr 0
		.amdhsa_user_sgpr_queue_ptr 0
		.amdhsa_user_sgpr_kernarg_segment_ptr 1
		.amdhsa_user_sgpr_dispatch_id 0
		.amdhsa_user_sgpr_kernarg_preload_length 0
		.amdhsa_user_sgpr_kernarg_preload_offset 0
		.amdhsa_user_sgpr_private_segment_size 0
		.amdhsa_uses_dynamic_stack 0
		.amdhsa_enable_private_segment 0
		.amdhsa_system_sgpr_workgroup_id_x 1
		.amdhsa_system_sgpr_workgroup_id_y 0
		.amdhsa_system_sgpr_workgroup_id_z 0
		.amdhsa_system_sgpr_workgroup_info 0
		.amdhsa_system_vgpr_workitem_id 0
		.amdhsa_next_free_vgpr 161
		.amdhsa_next_free_sgpr 80
		.amdhsa_accum_offset 164
		.amdhsa_reserve_vcc 1
		.amdhsa_float_round_mode_32 0
		.amdhsa_float_round_mode_16_64 0
		.amdhsa_float_denorm_mode_32 3
		.amdhsa_float_denorm_mode_16_64 3
		.amdhsa_dx10_clamp 1
		.amdhsa_ieee_mode 1
		.amdhsa_fp16_overflow 0
		.amdhsa_tg_split 0
		.amdhsa_exception_fp_ieee_invalid_op 0
		.amdhsa_exception_fp_denorm_src 0
		.amdhsa_exception_fp_ieee_div_zero 0
		.amdhsa_exception_fp_ieee_overflow 0
		.amdhsa_exception_fp_ieee_underflow 0
		.amdhsa_exception_fp_ieee_inexact 0
		.amdhsa_exception_int_div_zero 0
	.end_amdhsa_kernel
	.text
.Lfunc_end0:
	.size	fft_rtc_fwd_len357_factors_17_3_7_wgs_187_tpt_17_halfLds_half_ip_CI_unitstride_sbrr_dirReg, .Lfunc_end0-fft_rtc_fwd_len357_factors_17_3_7_wgs_187_tpt_17_halfLds_half_ip_CI_unitstride_sbrr_dirReg
                                        ; -- End function
	.section	.AMDGPU.csdata,"",@progbits
; Kernel info:
; codeLenInByte = 16576
; NumSgprs: 86
; NumVgprs: 161
; NumAgprs: 0
; TotalNumVgprs: 161
; ScratchSize: 0
; MemoryBound: 0
; FloatMode: 240
; IeeeMode: 1
; LDSByteSize: 0 bytes/workgroup (compile time only)
; SGPRBlocks: 10
; VGPRBlocks: 20
; NumSGPRsForWavesPerEU: 86
; NumVGPRsForWavesPerEU: 161
; AccumOffset: 164
; Occupancy: 3
; WaveLimiterHint : 1
; COMPUTE_PGM_RSRC2:SCRATCH_EN: 0
; COMPUTE_PGM_RSRC2:USER_SGPR: 2
; COMPUTE_PGM_RSRC2:TRAP_HANDLER: 0
; COMPUTE_PGM_RSRC2:TGID_X_EN: 1
; COMPUTE_PGM_RSRC2:TGID_Y_EN: 0
; COMPUTE_PGM_RSRC2:TGID_Z_EN: 0
; COMPUTE_PGM_RSRC2:TIDIG_COMP_CNT: 0
; COMPUTE_PGM_RSRC3_GFX90A:ACCUM_OFFSET: 40
; COMPUTE_PGM_RSRC3_GFX90A:TG_SPLIT: 0
	.text
	.p2alignl 6, 3212836864
	.fill 256, 4, 3212836864
	.type	__hip_cuid_b0ff574d6e49410,@object ; @__hip_cuid_b0ff574d6e49410
	.section	.bss,"aw",@nobits
	.globl	__hip_cuid_b0ff574d6e49410
__hip_cuid_b0ff574d6e49410:
	.byte	0                               ; 0x0
	.size	__hip_cuid_b0ff574d6e49410, 1

	.ident	"AMD clang version 19.0.0git (https://github.com/RadeonOpenCompute/llvm-project roc-6.4.0 25133 c7fe45cf4b819c5991fe208aaa96edf142730f1d)"
	.section	".note.GNU-stack","",@progbits
	.addrsig
	.addrsig_sym __hip_cuid_b0ff574d6e49410
	.amdgpu_metadata
---
amdhsa.kernels:
  - .agpr_count:     0
    .args:
      - .actual_access:  read_only
        .address_space:  global
        .offset:         0
        .size:           8
        .value_kind:     global_buffer
      - .offset:         8
        .size:           8
        .value_kind:     by_value
      - .actual_access:  read_only
        .address_space:  global
        .offset:         16
        .size:           8
        .value_kind:     global_buffer
      - .actual_access:  read_only
        .address_space:  global
        .offset:         24
        .size:           8
        .value_kind:     global_buffer
      - .offset:         32
        .size:           8
        .value_kind:     by_value
      - .actual_access:  read_only
        .address_space:  global
        .offset:         40
        .size:           8
        .value_kind:     global_buffer
      - .actual_access:  read_only
        .address_space:  global
        .offset:         48
        .size:           8
        .value_kind:     global_buffer
      - .offset:         56
        .size:           4
        .value_kind:     by_value
      - .actual_access:  read_only
        .address_space:  global
        .offset:         64
        .size:           8
        .value_kind:     global_buffer
      - .actual_access:  read_only
        .address_space:  global
        .offset:         72
        .size:           8
        .value_kind:     global_buffer
      - .address_space:  global
        .offset:         80
        .size:           8
        .value_kind:     global_buffer
    .group_segment_fixed_size: 0
    .kernarg_segment_align: 8
    .kernarg_segment_size: 88
    .language:       OpenCL C
    .language_version:
      - 2
      - 0
    .max_flat_workgroup_size: 187
    .name:           fft_rtc_fwd_len357_factors_17_3_7_wgs_187_tpt_17_halfLds_half_ip_CI_unitstride_sbrr_dirReg
    .private_segment_fixed_size: 0
    .sgpr_count:     86
    .sgpr_spill_count: 0
    .symbol:         fft_rtc_fwd_len357_factors_17_3_7_wgs_187_tpt_17_halfLds_half_ip_CI_unitstride_sbrr_dirReg.kd
    .uniform_work_group_size: 1
    .uses_dynamic_stack: false
    .vgpr_count:     161
    .vgpr_spill_count: 0
    .wavefront_size: 64
amdhsa.target:   amdgcn-amd-amdhsa--gfx950
amdhsa.version:
  - 1
  - 2
...

	.end_amdgpu_metadata
